;; amdgpu-corpus repo=ROCm/rocFFT kind=compiled arch=gfx1201 opt=O3
	.text
	.amdgcn_target "amdgcn-amd-amdhsa--gfx1201"
	.amdhsa_code_object_version 6
	.protected	fft_rtc_fwd_len612_factors_17_3_6_2_wgs_51_tpt_51_halfLds_sp_op_CI_CI_unitstride_sbrr_R2C_dirReg ; -- Begin function fft_rtc_fwd_len612_factors_17_3_6_2_wgs_51_tpt_51_halfLds_sp_op_CI_CI_unitstride_sbrr_R2C_dirReg
	.globl	fft_rtc_fwd_len612_factors_17_3_6_2_wgs_51_tpt_51_halfLds_sp_op_CI_CI_unitstride_sbrr_R2C_dirReg
	.p2align	8
	.type	fft_rtc_fwd_len612_factors_17_3_6_2_wgs_51_tpt_51_halfLds_sp_op_CI_CI_unitstride_sbrr_R2C_dirReg,@function
fft_rtc_fwd_len612_factors_17_3_6_2_wgs_51_tpt_51_halfLds_sp_op_CI_CI_unitstride_sbrr_R2C_dirReg: ; @fft_rtc_fwd_len612_factors_17_3_6_2_wgs_51_tpt_51_halfLds_sp_op_CI_CI_unitstride_sbrr_R2C_dirReg
; %bb.0:
	s_clause 0x2
	s_load_b128 s[8:11], s[0:1], 0x0
	s_load_b128 s[4:7], s[0:1], 0x58
	;; [unrolled: 1-line block ×3, first 2 shown]
	v_mul_u32_u24_e32 v1, 0x506, v0
	v_mov_b32_e32 v3, 0
	s_delay_alu instid0(VALU_DEP_2) | instskip(NEXT) | instid1(VALU_DEP_1)
	v_lshrrev_b32_e32 v1, 16, v1
	v_add_nc_u32_e32 v5, ttmp9, v1
	v_mov_b32_e32 v1, 0
	v_mov_b32_e32 v2, 0
	;; [unrolled: 1-line block ×3, first 2 shown]
	s_wait_kmcnt 0x0
	v_cmp_lt_u64_e64 s2, s[10:11], 2
	s_delay_alu instid0(VALU_DEP_1)
	s_and_b32 vcc_lo, exec_lo, s2
	s_cbranch_vccnz .LBB0_8
; %bb.1:
	s_load_b64 s[2:3], s[0:1], 0x10
	v_mov_b32_e32 v1, 0
	v_mov_b32_e32 v2, 0
	s_add_nc_u64 s[16:17], s[14:15], 8
	s_add_nc_u64 s[18:19], s[12:13], 8
	s_mov_b64 s[20:21], 1
	s_delay_alu instid0(VALU_DEP_1)
	v_dual_mov_b32 v33, v2 :: v_dual_mov_b32 v32, v1
	s_wait_kmcnt 0x0
	s_add_nc_u64 s[22:23], s[2:3], 8
	s_mov_b32 s3, 0
.LBB0_2:                                ; =>This Inner Loop Header: Depth=1
	s_load_b64 s[24:25], s[22:23], 0x0
                                        ; implicit-def: $vgpr36_vgpr37
	s_mov_b32 s2, exec_lo
	s_wait_kmcnt 0x0
	v_or_b32_e32 v4, s25, v6
	s_delay_alu instid0(VALU_DEP_1)
	v_cmpx_ne_u64_e32 0, v[3:4]
	s_wait_alu 0xfffe
	s_xor_b32 s26, exec_lo, s2
	s_cbranch_execz .LBB0_4
; %bb.3:                                ;   in Loop: Header=BB0_2 Depth=1
	s_cvt_f32_u32 s2, s24
	s_cvt_f32_u32 s27, s25
	s_sub_nc_u64 s[30:31], 0, s[24:25]
	s_wait_alu 0xfffe
	s_delay_alu instid0(SALU_CYCLE_1) | instskip(SKIP_1) | instid1(SALU_CYCLE_2)
	s_fmamk_f32 s2, s27, 0x4f800000, s2
	s_wait_alu 0xfffe
	v_s_rcp_f32 s2, s2
	s_delay_alu instid0(TRANS32_DEP_1) | instskip(SKIP_1) | instid1(SALU_CYCLE_2)
	s_mul_f32 s2, s2, 0x5f7ffffc
	s_wait_alu 0xfffe
	s_mul_f32 s27, s2, 0x2f800000
	s_wait_alu 0xfffe
	s_delay_alu instid0(SALU_CYCLE_2) | instskip(SKIP_1) | instid1(SALU_CYCLE_2)
	s_trunc_f32 s27, s27
	s_wait_alu 0xfffe
	s_fmamk_f32 s2, s27, 0xcf800000, s2
	s_cvt_u32_f32 s29, s27
	s_wait_alu 0xfffe
	s_delay_alu instid0(SALU_CYCLE_1) | instskip(SKIP_1) | instid1(SALU_CYCLE_2)
	s_cvt_u32_f32 s28, s2
	s_wait_alu 0xfffe
	s_mul_u64 s[34:35], s[30:31], s[28:29]
	s_wait_alu 0xfffe
	s_mul_hi_u32 s37, s28, s35
	s_mul_i32 s36, s28, s35
	s_mul_hi_u32 s2, s28, s34
	s_mul_i32 s33, s29, s34
	s_wait_alu 0xfffe
	s_add_nc_u64 s[36:37], s[2:3], s[36:37]
	s_mul_hi_u32 s27, s29, s34
	s_mul_hi_u32 s38, s29, s35
	s_add_co_u32 s2, s36, s33
	s_wait_alu 0xfffe
	s_add_co_ci_u32 s2, s37, s27
	s_mul_i32 s34, s29, s35
	s_add_co_ci_u32 s35, s38, 0
	s_wait_alu 0xfffe
	s_add_nc_u64 s[34:35], s[2:3], s[34:35]
	s_wait_alu 0xfffe
	v_add_co_u32 v4, s2, s28, s34
	s_delay_alu instid0(VALU_DEP_1) | instskip(SKIP_1) | instid1(VALU_DEP_1)
	s_cmp_lg_u32 s2, 0
	s_add_co_ci_u32 s29, s29, s35
	v_readfirstlane_b32 s28, v4
	s_wait_alu 0xfffe
	s_delay_alu instid0(VALU_DEP_1)
	s_mul_u64 s[30:31], s[30:31], s[28:29]
	s_wait_alu 0xfffe
	s_mul_hi_u32 s35, s28, s31
	s_mul_i32 s34, s28, s31
	s_mul_hi_u32 s2, s28, s30
	s_mul_i32 s33, s29, s30
	s_wait_alu 0xfffe
	s_add_nc_u64 s[34:35], s[2:3], s[34:35]
	s_mul_hi_u32 s27, s29, s30
	s_mul_hi_u32 s28, s29, s31
	s_wait_alu 0xfffe
	s_add_co_u32 s2, s34, s33
	s_add_co_ci_u32 s2, s35, s27
	s_mul_i32 s30, s29, s31
	s_add_co_ci_u32 s31, s28, 0
	s_wait_alu 0xfffe
	s_add_nc_u64 s[30:31], s[2:3], s[30:31]
	s_wait_alu 0xfffe
	v_add_co_u32 v4, s2, v4, s30
	s_delay_alu instid0(VALU_DEP_1) | instskip(SKIP_1) | instid1(VALU_DEP_1)
	s_cmp_lg_u32 s2, 0
	s_add_co_ci_u32 s2, s29, s31
	v_mul_hi_u32 v13, v5, v4
	s_wait_alu 0xfffe
	v_mad_co_u64_u32 v[7:8], null, v5, s2, 0
	v_mad_co_u64_u32 v[9:10], null, v6, v4, 0
	;; [unrolled: 1-line block ×3, first 2 shown]
	s_delay_alu instid0(VALU_DEP_3) | instskip(SKIP_1) | instid1(VALU_DEP_4)
	v_add_co_u32 v4, vcc_lo, v13, v7
	s_wait_alu 0xfffd
	v_add_co_ci_u32_e32 v7, vcc_lo, 0, v8, vcc_lo
	s_delay_alu instid0(VALU_DEP_2) | instskip(SKIP_1) | instid1(VALU_DEP_2)
	v_add_co_u32 v4, vcc_lo, v4, v9
	s_wait_alu 0xfffd
	v_add_co_ci_u32_e32 v4, vcc_lo, v7, v10, vcc_lo
	s_wait_alu 0xfffd
	v_add_co_ci_u32_e32 v7, vcc_lo, 0, v12, vcc_lo
	s_delay_alu instid0(VALU_DEP_2) | instskip(SKIP_1) | instid1(VALU_DEP_2)
	v_add_co_u32 v4, vcc_lo, v4, v11
	s_wait_alu 0xfffd
	v_add_co_ci_u32_e32 v9, vcc_lo, 0, v7, vcc_lo
	s_delay_alu instid0(VALU_DEP_2) | instskip(SKIP_1) | instid1(VALU_DEP_3)
	v_mul_lo_u32 v10, s25, v4
	v_mad_co_u64_u32 v[7:8], null, s24, v4, 0
	v_mul_lo_u32 v11, s24, v9
	s_delay_alu instid0(VALU_DEP_2) | instskip(NEXT) | instid1(VALU_DEP_2)
	v_sub_co_u32 v7, vcc_lo, v5, v7
	v_add3_u32 v8, v8, v11, v10
	s_delay_alu instid0(VALU_DEP_1) | instskip(SKIP_1) | instid1(VALU_DEP_1)
	v_sub_nc_u32_e32 v10, v6, v8
	s_wait_alu 0xfffd
	v_subrev_co_ci_u32_e64 v10, s2, s25, v10, vcc_lo
	v_add_co_u32 v11, s2, v4, 2
	s_wait_alu 0xf1ff
	v_add_co_ci_u32_e64 v12, s2, 0, v9, s2
	v_sub_co_u32 v13, s2, v7, s24
	v_sub_co_ci_u32_e32 v8, vcc_lo, v6, v8, vcc_lo
	s_wait_alu 0xf1ff
	v_subrev_co_ci_u32_e64 v10, s2, 0, v10, s2
	s_delay_alu instid0(VALU_DEP_3) | instskip(NEXT) | instid1(VALU_DEP_3)
	v_cmp_le_u32_e32 vcc_lo, s24, v13
	v_cmp_eq_u32_e64 s2, s25, v8
	s_wait_alu 0xfffd
	v_cndmask_b32_e64 v13, 0, -1, vcc_lo
	v_cmp_le_u32_e32 vcc_lo, s25, v10
	s_wait_alu 0xfffd
	v_cndmask_b32_e64 v14, 0, -1, vcc_lo
	v_cmp_le_u32_e32 vcc_lo, s24, v7
	;; [unrolled: 3-line block ×3, first 2 shown]
	s_wait_alu 0xfffd
	v_cndmask_b32_e64 v15, 0, -1, vcc_lo
	v_cmp_eq_u32_e32 vcc_lo, s25, v10
	s_wait_alu 0xf1ff
	s_delay_alu instid0(VALU_DEP_2)
	v_cndmask_b32_e64 v7, v15, v7, s2
	s_wait_alu 0xfffd
	v_cndmask_b32_e32 v10, v14, v13, vcc_lo
	v_add_co_u32 v13, vcc_lo, v4, 1
	s_wait_alu 0xfffd
	v_add_co_ci_u32_e32 v14, vcc_lo, 0, v9, vcc_lo
	s_delay_alu instid0(VALU_DEP_3) | instskip(SKIP_1) | instid1(VALU_DEP_2)
	v_cmp_ne_u32_e32 vcc_lo, 0, v10
	s_wait_alu 0xfffd
	v_cndmask_b32_e32 v8, v14, v12, vcc_lo
	v_cndmask_b32_e32 v10, v13, v11, vcc_lo
	v_cmp_ne_u32_e32 vcc_lo, 0, v7
	s_wait_alu 0xfffd
	s_delay_alu instid0(VALU_DEP_2)
	v_dual_cndmask_b32 v37, v9, v8 :: v_dual_cndmask_b32 v36, v4, v10
.LBB0_4:                                ;   in Loop: Header=BB0_2 Depth=1
	s_wait_alu 0xfffe
	s_and_not1_saveexec_b32 s2, s26
	s_cbranch_execz .LBB0_6
; %bb.5:                                ;   in Loop: Header=BB0_2 Depth=1
	v_cvt_f32_u32_e32 v4, s24
	s_sub_co_i32 s26, 0, s24
	v_mov_b32_e32 v37, v3
	s_delay_alu instid0(VALU_DEP_2) | instskip(NEXT) | instid1(TRANS32_DEP_1)
	v_rcp_iflag_f32_e32 v4, v4
	v_mul_f32_e32 v4, 0x4f7ffffe, v4
	s_delay_alu instid0(VALU_DEP_1) | instskip(SKIP_1) | instid1(VALU_DEP_1)
	v_cvt_u32_f32_e32 v4, v4
	s_wait_alu 0xfffe
	v_mul_lo_u32 v7, s26, v4
	s_delay_alu instid0(VALU_DEP_1) | instskip(NEXT) | instid1(VALU_DEP_1)
	v_mul_hi_u32 v7, v4, v7
	v_add_nc_u32_e32 v4, v4, v7
	s_delay_alu instid0(VALU_DEP_1) | instskip(NEXT) | instid1(VALU_DEP_1)
	v_mul_hi_u32 v4, v5, v4
	v_mul_lo_u32 v7, v4, s24
	v_add_nc_u32_e32 v8, 1, v4
	s_delay_alu instid0(VALU_DEP_2) | instskip(NEXT) | instid1(VALU_DEP_1)
	v_sub_nc_u32_e32 v7, v5, v7
	v_subrev_nc_u32_e32 v9, s24, v7
	v_cmp_le_u32_e32 vcc_lo, s24, v7
	s_wait_alu 0xfffd
	s_delay_alu instid0(VALU_DEP_2) | instskip(NEXT) | instid1(VALU_DEP_1)
	v_dual_cndmask_b32 v7, v7, v9 :: v_dual_cndmask_b32 v4, v4, v8
	v_cmp_le_u32_e32 vcc_lo, s24, v7
	s_delay_alu instid0(VALU_DEP_2) | instskip(SKIP_1) | instid1(VALU_DEP_1)
	v_add_nc_u32_e32 v8, 1, v4
	s_wait_alu 0xfffd
	v_cndmask_b32_e32 v36, v4, v8, vcc_lo
.LBB0_6:                                ;   in Loop: Header=BB0_2 Depth=1
	s_wait_alu 0xfffe
	s_or_b32 exec_lo, exec_lo, s2
	v_mul_lo_u32 v4, v37, s24
	s_delay_alu instid0(VALU_DEP_2)
	v_mul_lo_u32 v9, v36, s25
	s_load_b64 s[26:27], s[18:19], 0x0
	v_mad_co_u64_u32 v[7:8], null, v36, s24, 0
	s_load_b64 s[24:25], s[16:17], 0x0
	s_add_nc_u64 s[20:21], s[20:21], 1
	s_add_nc_u64 s[16:17], s[16:17], 8
	s_wait_alu 0xfffe
	v_cmp_ge_u64_e64 s2, s[20:21], s[10:11]
	s_add_nc_u64 s[18:19], s[18:19], 8
	s_add_nc_u64 s[22:23], s[22:23], 8
	v_add3_u32 v4, v8, v9, v4
	v_sub_co_u32 v5, vcc_lo, v5, v7
	s_wait_alu 0xfffd
	s_delay_alu instid0(VALU_DEP_2) | instskip(SKIP_2) | instid1(VALU_DEP_1)
	v_sub_co_ci_u32_e32 v4, vcc_lo, v6, v4, vcc_lo
	s_and_b32 vcc_lo, exec_lo, s2
	s_wait_kmcnt 0x0
	v_mul_lo_u32 v6, s26, v4
	v_mul_lo_u32 v7, s27, v5
	v_mad_co_u64_u32 v[1:2], null, s26, v5, v[1:2]
	v_mul_lo_u32 v4, s24, v4
	v_mul_lo_u32 v8, s25, v5
	v_mad_co_u64_u32 v[32:33], null, s24, v5, v[32:33]
	s_delay_alu instid0(VALU_DEP_4) | instskip(NEXT) | instid1(VALU_DEP_2)
	v_add3_u32 v2, v7, v2, v6
	v_add3_u32 v33, v8, v33, v4
	s_wait_alu 0xfffe
	s_cbranch_vccnz .LBB0_9
; %bb.7:                                ;   in Loop: Header=BB0_2 Depth=1
	v_dual_mov_b32 v5, v36 :: v_dual_mov_b32 v6, v37
	s_branch .LBB0_2
.LBB0_8:
	v_dual_mov_b32 v33, v2 :: v_dual_mov_b32 v32, v1
	v_dual_mov_b32 v37, v6 :: v_dual_mov_b32 v36, v5
.LBB0_9:
	s_load_b64 s[0:1], s[0:1], 0x28
	v_mul_hi_u32 v3, 0x5050506, v0
                                        ; implicit-def: $vgpr34
	s_wait_kmcnt 0x0
	s_delay_alu instid0(VALU_DEP_2) | instskip(SKIP_1) | instid1(VALU_DEP_1)
	v_cmp_gt_u64_e32 vcc_lo, s[0:1], v[36:37]
	v_cmp_le_u64_e64 s0, s[0:1], v[36:37]
	s_and_saveexec_b32 s1, s0
	s_wait_alu 0xfffe
	s_xor_b32 s0, exec_lo, s1
; %bb.10:
	s_delay_alu instid0(VALU_DEP_3) | instskip(NEXT) | instid1(VALU_DEP_1)
	v_mul_u32_u24_e32 v1, 51, v3
                                        ; implicit-def: $vgpr3
	v_sub_nc_u32_e32 v34, v0, v1
                                        ; implicit-def: $vgpr0
                                        ; implicit-def: $vgpr1_vgpr2
; %bb.11:
	s_wait_alu 0xfffe
	s_or_saveexec_b32 s1, s0
	s_lshl_b64 s[2:3], s[10:11], 3
	s_wait_alu 0xfffe
	s_xor_b32 exec_lo, exec_lo, s1
	s_cbranch_execz .LBB0_13
; %bb.12:
	s_add_nc_u64 s[10:11], s[12:13], s[2:3]
	v_lshlrev_b64_e32 v[1:2], 3, v[1:2]
	s_load_b64 s[10:11], s[10:11], 0x0
	s_wait_kmcnt 0x0
	v_mul_lo_u32 v6, s11, v36
	v_mul_lo_u32 v7, s10, v37
	v_mad_co_u64_u32 v[4:5], null, s10, v36, 0
	s_delay_alu instid0(VALU_DEP_1) | instskip(SKIP_1) | instid1(VALU_DEP_2)
	v_add3_u32 v5, v5, v7, v6
	v_mul_u32_u24_e32 v6, 51, v3
	v_lshlrev_b64_e32 v[3:4], 3, v[4:5]
	s_delay_alu instid0(VALU_DEP_2) | instskip(NEXT) | instid1(VALU_DEP_1)
	v_sub_nc_u32_e32 v34, v0, v6
	v_lshlrev_b32_e32 v24, 3, v34
	s_delay_alu instid0(VALU_DEP_3) | instskip(SKIP_1) | instid1(VALU_DEP_4)
	v_add_co_u32 v0, s0, s4, v3
	s_wait_alu 0xf1ff
	v_add_co_ci_u32_e64 v3, s0, s5, v4, s0
	s_delay_alu instid0(VALU_DEP_2) | instskip(SKIP_1) | instid1(VALU_DEP_2)
	v_add_co_u32 v0, s0, v0, v1
	s_wait_alu 0xf1ff
	v_add_co_ci_u32_e64 v1, s0, v3, v2, s0
	s_delay_alu instid0(VALU_DEP_2) | instskip(SKIP_1) | instid1(VALU_DEP_2)
	v_add_co_u32 v0, s0, v0, v24
	s_wait_alu 0xf1ff
	v_add_co_ci_u32_e64 v1, s0, 0, v1, s0
	s_clause 0xb
	global_load_b64 v[2:3], v[0:1], off
	global_load_b64 v[4:5], v[0:1], off offset:408
	global_load_b64 v[6:7], v[0:1], off offset:816
	global_load_b64 v[8:9], v[0:1], off offset:1224
	global_load_b64 v[10:11], v[0:1], off offset:1632
	global_load_b64 v[12:13], v[0:1], off offset:2040
	global_load_b64 v[14:15], v[0:1], off offset:2448
	global_load_b64 v[16:17], v[0:1], off offset:2856
	global_load_b64 v[18:19], v[0:1], off offset:3264
	global_load_b64 v[20:21], v[0:1], off offset:3672
	global_load_b64 v[22:23], v[0:1], off offset:4080
	global_load_b64 v[0:1], v[0:1], off offset:4488
	v_add_nc_u32_e32 v24, 0, v24
	s_delay_alu instid0(VALU_DEP_1)
	v_add_nc_u32_e32 v25, 0x800, v24
	v_add_nc_u32_e32 v26, 0xc00, v24
	s_wait_loadcnt 0xa
	ds_store_2addr_b64 v24, v[2:3], v[4:5] offset1:51
	s_wait_loadcnt 0x8
	ds_store_2addr_b64 v24, v[6:7], v[8:9] offset0:102 offset1:153
	s_wait_loadcnt 0x6
	ds_store_2addr_b64 v24, v[10:11], v[12:13] offset0:204 offset1:255
	;; [unrolled: 2-line block ×5, first 2 shown]
.LBB0_13:
	s_or_b32 exec_lo, exec_lo, s1
	v_lshl_add_u32 v40, v34, 3, 0
	global_wb scope:SCOPE_SE
	s_wait_dscnt 0x0
	s_barrier_signal -1
	s_barrier_wait -1
	global_inv scope:SCOPE_SE
	v_add_nc_u32_e32 v41, 0x800, v40
	v_add_nc_u32_e32 v42, 0xc00, v40
	ds_load_2addr_b64 v[0:3], v40 offset1:36
	ds_load_2addr_b64 v[28:31], v40 offset0:72 offset1:108
	ds_load_2addr_b64 v[24:27], v40 offset0:144 offset1:180
	;; [unrolled: 1-line block ×7, first 2 shown]
	ds_load_b64 v[38:39], v40 offset:4608
	s_add_nc_u64 s[2:3], s[14:15], s[2:3]
	s_mov_b32 s1, exec_lo
	global_wb scope:SCOPE_SE
	s_wait_dscnt 0x0
	s_barrier_signal -1
	s_barrier_wait -1
	global_inv scope:SCOPE_SE
	v_cmpx_gt_u32_e32 36, v34
	s_cbranch_execz .LBB0_15
; %bb.14:
	v_dual_sub_f32 v77, v2, v38 :: v_dual_add_f32 v46, v7, v29
	v_dual_add_f32 v47, v39, v3 :: v_dual_sub_f32 v76, v28, v6
	v_dual_sub_f32 v74, v30, v4 :: v_dual_add_f32 v45, v5, v31
	s_delay_alu instid0(VALU_DEP_3) | instskip(NEXT) | instid1(VALU_DEP_3)
	v_dual_mul_f32 v64, 0xbe3c28d5, v77 :: v_dual_sub_f32 v73, v26, v8
	v_dual_mul_f32 v58, 0x3eb8f4ab, v76 :: v_dual_add_f32 v43, v9, v27
	v_dual_sub_f32 v72, v24, v10 :: v_dual_add_f32 v35, v11, v25
	s_delay_alu instid0(VALU_DEP_3) | instskip(SKIP_1) | instid1(VALU_DEP_4)
	v_dual_fmamk_f32 v44, v47, 0xbf7ba420, v64 :: v_dual_sub_f32 v75, v20, v14
	v_mul_f32_e32 v59, 0xbf06c442, v74
	v_fmamk_f32 v48, v46, 0x3f6eb680, v58
	s_delay_alu instid0(VALU_DEP_4) | instskip(NEXT) | instid1(VALU_DEP_4)
	v_mul_f32_e32 v60, 0x3f2c7751, v72
	v_dual_add_f32 v49, v1, v44 :: v_dual_add_f32 v44, v15, v21
	s_delay_alu instid0(VALU_DEP_4) | instskip(SKIP_1) | instid1(VALU_DEP_3)
	v_fmamk_f32 v50, v45, 0xbf59a7d5, v59
	v_dual_sub_f32 v80, v3, v39 :: v_dual_mul_f32 v63, 0xbf4c4adb, v73
	v_dual_add_f32 v48, v48, v49 :: v_dual_add_f32 v49, v38, v2
	v_fmamk_f32 v51, v35, 0x3f3d2fb0, v60
	s_delay_alu instid0(VALU_DEP_3) | instskip(NEXT) | instid1(VALU_DEP_3)
	v_dual_mul_f32 v69, 0xbe3c28d5, v80 :: v_dual_sub_f32 v82, v31, v5
	v_dual_add_f32 v48, v50, v48 :: v_dual_sub_f32 v81, v29, v7
	v_dual_add_f32 v50, v6, v28 :: v_dual_mul_f32 v61, 0x3f65296c, v75
	v_dual_fmamk_f32 v52, v43, 0xbf1a4643, v63 :: v_dual_sub_f32 v83, v25, v11
	s_delay_alu instid0(VALU_DEP_3) | instskip(SKIP_2) | instid1(VALU_DEP_3)
	v_dual_add_f32 v48, v51, v48 :: v_dual_mul_f32 v71, 0xbf06c442, v82
	v_fma_f32 v51, 0xbf7ba420, v49, -v69
	v_dual_mul_f32 v70, 0x3eb8f4ab, v81 :: v_dual_sub_f32 v79, v22, v12
	v_dual_add_f32 v54, v52, v48 :: v_dual_mul_f32 v67, 0x3f2c7751, v83
	v_fmamk_f32 v55, v44, 0x3ee437d1, v61
	s_delay_alu instid0(VALU_DEP_4) | instskip(NEXT) | instid1(VALU_DEP_4)
	v_add_f32_e32 v48, v0, v51
	v_fma_f32 v52, 0x3f6eb680, v50, -v70
	v_dual_add_f32 v51, v4, v30 :: v_dual_sub_f32 v84, v27, v9
	s_delay_alu instid0(VALU_DEP_4) | instskip(SKIP_1) | instid1(VALU_DEP_4)
	v_add_f32_e32 v55, v55, v54
	v_sub_f32_e32 v85, v21, v15
	v_add_f32_e32 v53, v52, v48
	s_delay_alu instid0(VALU_DEP_4) | instskip(SKIP_3) | instid1(VALU_DEP_4)
	v_fma_f32 v56, 0xbf59a7d5, v51, -v71
	v_dual_add_f32 v52, v10, v24 :: v_dual_mul_f32 v57, 0xbf763a35, v79
	v_add_f32_e32 v48, v13, v23
	v_mul_f32_e32 v68, 0xbf4c4adb, v84
	v_add_f32_e32 v56, v56, v53
	s_delay_alu instid0(VALU_DEP_4) | instskip(SKIP_3) | instid1(VALU_DEP_4)
	v_fma_f32 v62, 0x3f3d2fb0, v52, -v67
	v_add_f32_e32 v53, v8, v26
	v_fmamk_f32 v65, v48, 0xbe8c1d8e, v57
	v_dual_add_f32 v3, v1, v3 :: v_dual_sub_f32 v78, v16, v18
	v_add_f32_e32 v56, v62, v56
	s_delay_alu instid0(VALU_DEP_4) | instskip(SKIP_1) | instid1(VALU_DEP_4)
	v_fma_f32 v62, 0xbf1a4643, v53, -v68
	v_mul_f32_e32 v66, 0x3f65296c, v85
	v_dual_add_f32 v90, v65, v55 :: v_dual_add_f32 v3, v3, v29
	v_dual_sub_f32 v110, v17, v19 :: v_dual_mul_f32 v89, 0x3f65296c, v76
	s_delay_alu instid0(VALU_DEP_4) | instskip(SKIP_1) | instid1(VALU_DEP_4)
	v_dual_add_f32 v87, v62, v56 :: v_dual_sub_f32 v86, v23, v13
	v_add_f32_e32 v54, v14, v20
	v_dual_add_f32 v56, v12, v22 :: v_dual_add_f32 v95, v3, v31
	v_add_f32_e32 v55, v19, v17
	s_delay_alu instid0(VALU_DEP_4) | instskip(NEXT) | instid1(VALU_DEP_4)
	v_mul_f32_e32 v65, 0xbf763a35, v86
	v_fma_f32 v88, 0x3ee437d1, v54, -v66
	v_mul_f32_e32 v29, 0x3f7ee86f, v110
	v_dual_mul_f32 v121, 0x3f06c442, v76 :: v_dual_mul_f32 v118, 0x3f06c442, v81
	s_delay_alu instid0(VALU_DEP_4) | instskip(NEXT) | instid1(VALU_DEP_4)
	v_fma_f32 v92, 0xbe8c1d8e, v56, -v65
	v_dual_add_f32 v91, v88, v87 :: v_dual_mul_f32 v88, 0xbf06c442, v77
	v_add_f32_e32 v2, v0, v2
	v_fmamk_f32 v94, v46, 0x3ee437d1, v89
	v_mul_f32_e32 v100, 0xbe3c28d5, v79
	s_delay_alu instid0(VALU_DEP_4) | instskip(SKIP_4) | instid1(VALU_DEP_4)
	v_add_f32_e32 v91, v92, v91
	v_fmamk_f32 v87, v47, 0xbf59a7d5, v88
	v_mul_f32_e32 v62, 0x3f7ee86f, v78
	v_add_f32_e32 v2, v2, v28
	v_add_f32_e32 v28, v18, v16
	v_dual_mul_f32 v124, 0xbe3c28d5, v73 :: v_dual_add_f32 v93, v1, v87
	v_mul_f32_e32 v87, 0xbf7ee86f, v74
	s_delay_alu instid0(VALU_DEP_4) | instskip(SKIP_1) | instid1(VALU_DEP_3)
	v_dual_fmamk_f32 v3, v55, 0x3dbcf732, v62 :: v_dual_add_f32 v96, v2, v30
	v_add_f32_e32 v25, v95, v25
	v_dual_add_f32 v92, v94, v93 :: v_dual_fmamk_f32 v93, v45, 0x3dbcf732, v87
	v_fma_f32 v94, 0x3dbcf732, v28, -v29
	v_mul_f32_e32 v31, 0x3f4c4adb, v72
	v_dual_add_f32 v24, v96, v24 :: v_dual_add_f32 v3, v3, v90
	s_delay_alu instid0(VALU_DEP_4) | instskip(NEXT) | instid1(VALU_DEP_4)
	v_add_f32_e32 v90, v93, v92
	v_add_f32_e32 v2, v94, v91
	s_delay_alu instid0(VALU_DEP_4) | instskip(NEXT) | instid1(VALU_DEP_4)
	v_dual_fmamk_f32 v92, v35, 0xbf1a4643, v31 :: v_dual_add_f32 v25, v25, v27
	v_dual_add_f32 v26, v24, v26 :: v_dual_mul_f32 v93, 0x3f65296c, v81
	v_mul_f32_e32 v30, 0xbeb8f4ab, v73
	s_delay_alu instid0(VALU_DEP_3) | instskip(NEXT) | instid1(VALU_DEP_3)
	v_dual_mul_f32 v24, 0xbe3c28d5, v75 :: v_dual_add_f32 v21, v25, v21
	v_dual_add_f32 v25, v26, v20 :: v_dual_add_f32 v90, v92, v90
	s_delay_alu instid0(VALU_DEP_3) | instskip(NEXT) | instid1(VALU_DEP_3)
	v_fmamk_f32 v91, v43, 0x3f6eb680, v30
	v_dual_mul_f32 v92, 0xbf06c442, v80 :: v_dual_add_f32 v21, v21, v23
	s_delay_alu instid0(VALU_DEP_3) | instskip(NEXT) | instid1(VALU_DEP_3)
	v_dual_mul_f32 v99, 0x3f4c4adb, v83 :: v_dual_add_f32 v22, v25, v22
	v_dual_add_f32 v90, v91, v90 :: v_dual_fmamk_f32 v91, v44, 0xbf7ba420, v24
	s_delay_alu instid0(VALU_DEP_3) | instskip(NEXT) | instid1(VALU_DEP_3)
	v_fma_f32 v27, 0xbf59a7d5, v49, -v92
	v_dual_add_f32 v17, v21, v17 :: v_dual_add_f32 v16, v22, v16
	v_mul_f32_e32 v98, 0x3f763a35, v76
	s_delay_alu instid0(VALU_DEP_3) | instskip(SKIP_4) | instid1(VALU_DEP_4)
	v_dual_mul_f32 v95, 0xbf4c4adb, v78 :: v_dual_add_f32 v26, v0, v27
	v_fma_f32 v27, 0x3ee437d1, v50, -v93
	v_mul_f32_e32 v20, 0x3f2c7751, v79
	v_dual_add_f32 v17, v17, v19 :: v_dual_add_f32 v16, v16, v18
	v_mul_f32_e32 v97, 0xbf4c4adb, v77
	v_add_f32_e32 v23, v27, v26
	v_mul_f32_e32 v96, 0xbf7ee86f, v82
	v_dual_add_f32 v27, v91, v90 :: v_dual_fmamk_f32 v90, v48, 0x3f3d2fb0, v20
	v_dual_add_f32 v13, v17, v13 :: v_dual_add_f32 v12, v16, v12
	s_delay_alu instid0(VALU_DEP_3) | instskip(SKIP_1) | instid1(VALU_DEP_4)
	v_fma_f32 v26, 0x3dbcf732, v51, -v96
	v_fmamk_f32 v17, v47, 0xbf1a4643, v97
	v_add_f32_e32 v27, v90, v27
	s_delay_alu instid0(VALU_DEP_4) | instskip(NEXT) | instid1(VALU_DEP_4)
	v_dual_add_f32 v13, v13, v15 :: v_dual_add_f32 v12, v12, v14
	v_add_f32_e32 v23, v26, v23
	v_fma_f32 v26, 0xbf1a4643, v52, -v99
	v_mul_f32_e32 v25, 0xbeb8f4ab, v84
	s_delay_alu instid0(VALU_DEP_4) | instskip(NEXT) | instid1(VALU_DEP_3)
	v_dual_mul_f32 v19, 0xbf763a35, v78 :: v_dual_add_f32 v8, v12, v8
	v_dual_add_f32 v15, v1, v17 :: v_dual_add_f32 v22, v26, v23
	s_delay_alu instid0(VALU_DEP_3) | instskip(SKIP_3) | instid1(VALU_DEP_4)
	v_fma_f32 v23, 0x3f6eb680, v53, -v25
	v_mul_f32_e32 v21, 0xbe3c28d5, v85
	v_mul_f32_e32 v105, 0xbf2c7751, v75
	;; [unrolled: 1-line block ×3, first 2 shown]
	v_dual_mul_f32 v91, 0xbf2c7751, v85 :: v_dual_add_f32 v18, v23, v22
	s_delay_alu instid0(VALU_DEP_4) | instskip(SKIP_2) | instid1(VALU_DEP_3)
	v_fma_f32 v16, 0xbf7ba420, v54, -v21
	v_dual_mul_f32 v22, 0x3f2c7751, v86 :: v_dual_add_f32 v9, v13, v9
	v_mul_f32_e32 v90, 0xbeb8f4ab, v74
	v_dual_mul_f32 v101, 0xbf06c442, v83 :: v_dual_add_f32 v14, v16, v18
	v_fmamk_f32 v16, v46, 0xbe8c1d8e, v98
	s_delay_alu instid0(VALU_DEP_4) | instskip(SKIP_2) | instid1(VALU_DEP_4)
	v_fma_f32 v17, 0x3f3d2fb0, v56, -v22
	v_dual_add_f32 v11, v9, v11 :: v_dual_mul_f32 v108, 0xbf4c4adb, v80
	v_mul_f32_e32 v26, 0xbf06c442, v72
	v_dual_add_f32 v12, v16, v15 :: v_dual_fmamk_f32 v9, v55, 0xbe8c1d8e, v19
	s_delay_alu instid0(VALU_DEP_4) | instskip(NEXT) | instid1(VALU_DEP_3)
	v_add_f32_e32 v13, v17, v14
	v_dual_add_f32 v10, v8, v10 :: v_dual_fmamk_f32 v15, v35, 0xbf59a7d5, v26
	v_add_f32_e32 v5, v11, v5
	v_fma_f32 v16, 0xbf1a4643, v49, -v108
	v_fmamk_f32 v8, v45, 0x3f6eb680, v90
	v_dual_mul_f32 v18, 0xbf763a35, v110 :: v_dual_add_f32 v9, v9, v27
	v_fma_f32 v11, 0x3f6eb680, v51, -v113
	v_mul_f32_e32 v112, 0x3f763a35, v81
	s_delay_alu instid0(VALU_DEP_4) | instskip(NEXT) | instid1(VALU_DEP_4)
	v_add_f32_e32 v12, v8, v12
	v_fma_f32 v14, 0xbe8c1d8e, v28, -v18
	v_dual_mul_f32 v94, 0x3f7ee86f, v73 :: v_dual_add_f32 v5, v5, v7
	v_add_f32_e32 v4, v10, v4
	s_delay_alu instid0(VALU_DEP_4) | instskip(NEXT) | instid1(VALU_DEP_3)
	v_add_f32_e32 v12, v15, v12
	v_dual_add_f32 v8, v14, v13 :: v_dual_fmamk_f32 v15, v43, 0x3dbcf732, v94
	v_add_f32_e32 v13, v0, v16
	v_fma_f32 v14, 0xbe8c1d8e, v50, -v112
	v_dual_mul_f32 v103, 0x3f7ee86f, v84 :: v_dual_add_f32 v4, v4, v6
	v_dual_fmamk_f32 v6, v44, 0x3f3d2fb0, v105 :: v_dual_add_f32 v5, v5, v39
	s_delay_alu instid0(VALU_DEP_3) | instskip(NEXT) | instid1(VALU_DEP_3)
	v_dual_add_f32 v10, v14, v13 :: v_dual_mul_f32 v27, 0xbe3c28d5, v86
	v_add_f32_e32 v4, v4, v38
	v_mul_f32_e32 v39, 0x3f2c7751, v78
	v_fma_f32 v13, 0xbf59a7d5, v50, -v118
	s_delay_alu instid0(VALU_DEP_4) | instskip(SKIP_3) | instid1(VALU_DEP_3)
	v_add_f32_e32 v7, v11, v10
	v_fma_f32 v10, 0xbf59a7d5, v52, -v101
	v_dual_add_f32 v12, v15, v12 :: v_dual_fmamk_f32 v11, v48, 0xbf7ba420, v100
	v_fmamk_f32 v15, v55, 0xbf1a4643, v95
	v_dual_mul_f32 v148, 0x3f2c7751, v74 :: v_dual_add_f32 v7, v10, v7
	v_fma_f32 v10, 0x3dbcf732, v53, -v103
	s_delay_alu instid0(VALU_DEP_4) | instskip(SKIP_2) | instid1(VALU_DEP_3)
	v_dual_add_f32 v6, v6, v12 :: v_dual_fmamk_f32 v17, v55, 0x3f3d2fb0, v39
	v_mul_f32_e32 v102, 0x3f65296c, v110
	v_dual_mul_f32 v114, 0xbf65296c, v83 :: v_dual_mul_f32 v157, 0xbf65296c, v80
	v_dual_add_f32 v7, v10, v7 :: v_dual_add_f32 v6, v11, v6
	v_fma_f32 v10, 0x3f3d2fb0, v54, -v91
	v_mul_f32_e32 v120, 0xbf763a35, v77
	v_fma_f32 v14, 0x3ee437d1, v28, -v102
	v_dual_mul_f32 v106, 0xbe3c28d5, v84 :: v_dual_mul_f32 v143, 0xbe3c28d5, v81
	s_delay_alu instid0(VALU_DEP_4)
	v_add_f32_e32 v7, v10, v7
	v_fma_f32 v10, 0xbf7ba420, v56, -v27
	v_mul_f32_e32 v23, 0x3f65296c, v78
	v_fmamk_f32 v12, v47, 0xbe8c1d8e, v120
	v_mul_f32_e32 v125, 0x3f7ee86f, v75
	v_mul_f32_e32 v104, 0xbeb8f4ab, v86
	s_delay_alu instid0(VALU_DEP_4) | instskip(SKIP_3) | instid1(VALU_DEP_4)
	v_dual_add_f32 v10, v10, v7 :: v_dual_fmamk_f32 v11, v55, 0x3ee437d1, v23
	v_dual_mul_f32 v141, 0xbf7ee86f, v77 :: v_dual_mul_f32 v142, 0xbf7ee86f, v80
	v_mul_f32_e32 v146, 0xbe3c28d5, v76
	v_dual_mul_f32 v150, 0x3f763a35, v74 :: v_dual_mul_f32 v147, 0x3f763a35, v72
	v_dual_add_f32 v7, v11, v6 :: v_dual_add_f32 v6, v1, v12
	v_fmamk_f32 v11, v46, 0xbf59a7d5, v121
	v_mul_f32_e32 v117, 0xbf763a35, v80
	v_dual_mul_f32 v144, 0x3f763a35, v82 :: v_dual_mul_f32 v137, 0x3f763a35, v83
	v_mul_f32_e32 v152, 0xbf65296c, v73
	s_delay_alu instid0(VALU_DEP_4) | instskip(NEXT) | instid1(VALU_DEP_4)
	v_add_f32_e32 v6, v11, v6
	v_fma_f32 v12, 0xbe8c1d8e, v49, -v117
	v_fmamk_f32 v11, v45, 0x3f3d2fb0, v148
	v_mul_f32_e32 v123, 0xbf65296c, v72
	v_mul_f32_e32 v122, 0xbf65296c, v84
	;; [unrolled: 1-line block ×3, first 2 shown]
	v_dual_add_f32 v12, v0, v12 :: v_dual_mul_f32 v119, 0x3f2c7751, v82
	v_add_f32_e32 v6, v11, v6
	v_dual_mul_f32 v116, 0xbf06c442, v85 :: v_dual_mul_f32 v159, 0xbf06c442, v78
	s_delay_alu instid0(VALU_DEP_3) | instskip(NEXT) | instid1(VALU_DEP_4)
	v_add_f32_e32 v12, v13, v12
	v_fma_f32 v13, 0x3f3d2fb0, v51, -v119
	v_fmamk_f32 v11, v35, 0x3ee437d1, v123
	v_mul_f32_e32 v38, 0x3f4c4adb, v86
	v_mul_f32_e32 v156, 0xbf65296c, v77
	v_dual_mul_f32 v158, 0xbf4c4adb, v76 :: v_dual_mul_f32 v163, 0xbf4c4adb, v74
	v_add_f32_e32 v12, v13, v12
	v_add_f32_e32 v6, v11, v6
	v_fma_f32 v13, 0x3ee437d1, v52, -v114
	v_fmamk_f32 v11, v43, 0xbf7ba420, v124
	v_mul_f32_e32 v160, 0x3e3c28d5, v74
	v_mul_f32_e32 v136, 0xbf4c4adb, v81
	;; [unrolled: 1-line block ×3, first 2 shown]
	v_add_f32_e32 v12, v13, v12
	v_dual_add_f32 v6, v11, v6 :: v_dual_fmamk_f32 v11, v44, 0x3dbcf732, v125
	v_mul_f32_e32 v115, 0xbeb8f4ab, v79
	v_fma_f32 v13, 0xbf7ba420, v53, -v106
	v_mul_f32_e32 v107, 0x3f7ee86f, v85
	s_delay_alu instid0(VALU_DEP_4) | instskip(SKIP_1) | instid1(VALU_DEP_4)
	v_dual_mul_f32 v167, 0x3f763a35, v75 :: v_dual_add_f32 v6, v11, v6
	v_mul_f32_e32 v138, 0x3f2c7751, v84
	v_add_f32_e32 v12, v13, v12
	s_delay_alu instid0(VALU_DEP_4) | instskip(SKIP_4) | instid1(VALU_DEP_4)
	v_fma_f32 v13, 0x3dbcf732, v54, -v107
	v_fmamk_f32 v11, v48, 0x3f6eb680, v115
	v_mul_f32_e32 v149, 0x3f2c7751, v73
	v_mul_f32_e32 v140, 0xbeb8f4ab, v85
	;; [unrolled: 1-line block ×3, first 2 shown]
	v_dual_add_f32 v12, v13, v12 :: v_dual_add_f32 v11, v11, v6
	v_fma_f32 v13, 0x3f6eb680, v56, -v104
	v_add_f32_e32 v6, v14, v10
	v_fmamk_f32 v10, v47, 0x3dbcf732, v141
	v_fma_f32 v14, 0x3dbcf732, v49, -v142
	v_mul_f32_e32 v162, 0xbf7ee86f, v76
	v_dual_add_f32 v12, v13, v12 :: v_dual_fmamk_f32 v13, v46, 0xbf7ba420, v146
	s_delay_alu instid0(VALU_DEP_4) | instskip(NEXT) | instid1(VALU_DEP_4)
	v_add_f32_e32 v10, v1, v10
	v_dual_add_f32 v14, v0, v14 :: v_dual_add_f32 v11, v15, v11
	v_fma_f32 v15, 0xbf7ba420, v50, -v143
	v_mul_f32_e32 v111, 0xbf4c4adb, v110
	s_delay_alu instid0(VALU_DEP_4) | instskip(SKIP_1) | instid1(VALU_DEP_4)
	v_add_f32_e32 v10, v13, v10
	v_fmamk_f32 v13, v45, 0xbe8c1d8e, v150
	v_dual_mul_f32 v135, 0xbf7ee86f, v79 :: v_dual_add_f32 v14, v15, v14
	v_fma_f32 v15, 0xbe8c1d8e, v51, -v144
	s_delay_alu instid0(VALU_DEP_3) | instskip(SKIP_1) | instid1(VALU_DEP_3)
	v_dual_mul_f32 v153, 0xbf06c442, v75 :: v_dual_add_f32 v10, v13, v10
	v_fmamk_f32 v13, v35, 0x3f6eb680, v151
	v_dual_mul_f32 v145, 0x3eb8f4ab, v83 :: v_dual_add_f32 v14, v15, v14
	v_fma_f32 v16, 0xbf1a4643, v28, -v111
	s_delay_alu instid0(VALU_DEP_3) | instskip(SKIP_1) | instid1(VALU_DEP_4)
	v_dual_mul_f32 v75, 0xbf4c4adb, v75 :: v_dual_add_f32 v10, v13, v10
	v_fmamk_f32 v13, v43, 0x3ee437d1, v152
	v_fma_f32 v15, 0x3f6eb680, v52, -v145
	v_mul_f32_e32 v133, 0x3f4c4adb, v79
	v_mul_f32_e32 v155, 0xbf06c442, v110
	;; [unrolled: 1-line block ×3, first 2 shown]
	v_dual_add_f32 v10, v13, v10 :: v_dual_fmamk_f32 v13, v44, 0xbf59a7d5, v153
	v_add_f32_e32 v14, v15, v14
	v_fma_f32 v15, 0x3ee437d1, v53, -v122
	v_fma_f32 v130, 0xbf59a7d5, v28, -v155
	;; [unrolled: 1-line block ×3, first 2 shown]
	v_dual_add_f32 v10, v13, v10 :: v_dual_fmamk_f32 v13, v48, 0xbf1a4643, v133
	s_delay_alu instid0(VALU_DEP_4) | instskip(SKIP_4) | instid1(VALU_DEP_4)
	v_add_f32_e32 v14, v15, v14
	v_fma_f32 v15, 0xbf59a7d5, v54, -v116
	v_fmamk_f32 v131, v45, 0xbf1a4643, v163
	v_dual_fmac_f32 v69, 0xbf7ba420, v49 :: v_dual_add_f32 v64, v1, v64
	v_add_f32_e32 v13, v13, v10
	v_add_f32_e32 v14, v15, v14
	v_fma_f32 v15, 0xbf1a4643, v56, -v38
	v_add_f32_e32 v10, v16, v12
	v_fmamk_f32 v12, v47, 0x3ee437d1, v156
	v_fma_f32 v16, 0x3ee437d1, v49, -v157
	s_delay_alu instid0(VALU_DEP_4) | instskip(NEXT) | instid1(VALU_DEP_3)
	v_dual_mul_f32 v165, 0x3f06c442, v73 :: v_dual_add_f32 v14, v15, v14
	v_dual_fmamk_f32 v15, v46, 0xbf1a4643, v158 :: v_dual_add_f32 v12, v1, v12
	s_delay_alu instid0(VALU_DEP_3) | instskip(SKIP_1) | instid1(VALU_DEP_3)
	v_dual_add_f32 v16, v0, v16 :: v_dual_add_f32 v13, v17, v13
	v_fma_f32 v17, 0xbf1a4643, v50, -v136
	v_dual_mul_f32 v139, 0x3e3c28d5, v82 :: v_dual_add_f32 v12, v15, v12
	v_fmamk_f32 v15, v45, 0xbf7ba420, v160
	s_delay_alu instid0(VALU_DEP_3) | instskip(NEXT) | instid1(VALU_DEP_3)
	v_dual_mul_f32 v109, 0x3f2c7751, v110 :: v_dual_add_f32 v16, v17, v16
	v_fma_f32 v17, 0xbf7ba420, v51, -v139
	v_fma_f32 v58, 0x3f6eb680, v46, -v58
	s_delay_alu instid0(VALU_DEP_4) | instskip(SKIP_4) | instid1(VALU_DEP_4)
	v_add_f32_e32 v12, v15, v12
	v_fmamk_f32 v15, v35, 0xbe8c1d8e, v147
	v_fma_f32 v126, 0x3f3d2fb0, v28, -v109
	v_add_f32_e32 v16, v17, v16
	v_fma_f32 v17, 0xbe8c1d8e, v52, -v137
	v_dual_mul_f32 v161, 0xbf2c7751, v77 :: v_dual_add_f32 v12, v15, v12
	v_fmamk_f32 v15, v43, 0x3f3d2fb0, v149
	v_dual_fmamk_f32 v166, v43, 0xbf59a7d5, v165 :: v_dual_add_f32 v69, v0, v69
	s_delay_alu instid0(VALU_DEP_4) | instskip(SKIP_1) | instid1(VALU_DEP_4)
	v_add_f32_e32 v16, v17, v16
	v_fma_f32 v17, 0x3f3d2fb0, v53, -v138
	v_dual_add_f32 v12, v15, v12 :: v_dual_fmamk_f32 v15, v44, 0x3f6eb680, v134
	v_fmamk_f32 v127, v48, 0x3dbcf732, v135
	v_dual_fmac_f32 v70, 0x3f6eb680, v50 :: v_dual_fmac_f32 v25, 0x3f6eb680, v53
	s_delay_alu instid0(VALU_DEP_4) | instskip(NEXT) | instid1(VALU_DEP_4)
	v_add_f32_e32 v16, v17, v16
	v_add_f32_e32 v15, v15, v12
	v_fma_f32 v17, 0x3f6eb680, v54, -v140
	v_add_f32_e32 v12, v126, v14
	v_mul_f32_e32 v126, 0xbf2c7751, v80
	v_dual_add_f32 v58, v58, v64 :: v_dual_fmac_f32 v71, 0xbf59a7d5, v51
	s_delay_alu instid0(VALU_DEP_4)
	v_dual_add_f32 v14, v127, v15 :: v_dual_add_f32 v15, v17, v16
	v_fmamk_f32 v16, v47, 0x3f3d2fb0, v161
	v_mul_f32_e32 v127, 0xbf7ee86f, v81
	v_fma_f32 v17, 0x3dbcf732, v56, -v154
	v_mul_f32_e32 v81, 0xbf2c7751, v81
	v_fma_f32 v129, 0x3f3d2fb0, v49, -v126
	v_add_f32_e32 v16, v1, v16
	v_fma_f32 v132, 0x3dbcf732, v50, -v127
	v_add_f32_e32 v17, v17, v15
	v_fmamk_f32 v15, v55, 0xbf59a7d5, v159
	v_add_f32_e32 v129, v0, v129
	v_fma_f32 v59, 0xbf59a7d5, v45, -v59
	v_add_f32_e32 v69, v70, v69
	v_fma_f32 v60, 0x3f3d2fb0, v35, -v60
	v_dual_add_f32 v15, v15, v14 :: v_dual_add_f32 v14, v130, v17
	v_add_f32_e32 v17, v132, v129
	v_mul_f32_e32 v129, 0xbe3c28d5, v83
	v_mul_f32_e32 v83, 0xbf7ee86f, v83
	v_fmamk_f32 v128, v46, 0x3dbcf732, v162
	v_dual_add_f32 v58, v59, v58 :: v_dual_fmac_f32 v67, 0x3f3d2fb0, v52
	s_delay_alu instid0(VALU_DEP_4) | instskip(SKIP_1) | instid1(VALU_DEP_4)
	v_fma_f32 v132, 0xbf7ba420, v52, -v129
	v_mul_f32_e32 v168, 0x3f65296c, v79
	v_add_f32_e32 v16, v128, v16
	v_dual_mul_f32 v128, 0xbf4c4adb, v82 :: v_dual_add_f32 v69, v71, v69
	v_add_f32_e32 v60, v60, v58
	v_fma_f32 v63, 0xbf1a4643, v43, -v63
	s_delay_alu instid0(VALU_DEP_4) | instskip(SKIP_4) | instid1(VALU_DEP_4)
	v_add_f32_e32 v16, v131, v16
	v_fmamk_f32 v131, v35, 0xbf7ba420, v164
	v_fma_f32 v71, 0xbf59a7d5, v47, -v88
	v_mul_f32_e32 v77, 0xbeb8f4ab, v77
	v_dual_mul_f32 v170, 0x3eb8f4ab, v78 :: v_dual_add_f32 v67, v67, v69
	v_dual_add_f32 v16, v131, v16 :: v_dual_mul_f32 v131, 0x3f763a35, v85
	v_mul_f32_e32 v85, 0xbf4c4adb, v85
	v_fma_f32 v130, 0xbf1a4643, v51, -v128
	v_add_f32_e32 v60, v63, v60
	s_delay_alu instid0(VALU_DEP_4) | instskip(SKIP_3) | instid1(VALU_DEP_3)
	v_add_f32_e32 v16, v166, v16
	v_fmamk_f32 v166, v44, 0xbe8c1d8e, v167
	v_fma_f32 v169, 0xbe8c1d8e, v54, -v131
	v_dual_add_f32 v17, v130, v17 :: v_dual_mul_f32 v130, 0x3f06c442, v84
	v_dual_add_f32 v63, v1, v71 :: v_dual_add_f32 v16, v166, v16
	v_fmamk_f32 v166, v48, 0x3ee437d1, v168
	s_delay_alu instid0(VALU_DEP_3) | instskip(NEXT) | instid1(VALU_DEP_4)
	v_add_f32_e32 v17, v132, v17
	v_fma_f32 v132, 0xbf59a7d5, v53, -v130
	v_fma_f32 v69, 0x3ee437d1, v46, -v89
	v_fmac_f32_e32 v118, 0xbf59a7d5, v50
	v_fmac_f32_e32 v108, 0xbf1a4643, v49
	;; [unrolled: 1-line block ×3, first 2 shown]
	v_dual_add_f32 v17, v132, v17 :: v_dual_mul_f32 v132, 0x3f65296c, v86
	v_add_f32_e32 v16, v166, v16
	s_delay_alu instid0(VALU_DEP_3) | instskip(NEXT) | instid1(VALU_DEP_3)
	v_dual_fmamk_f32 v166, v47, 0x3f6eb680, v77 :: v_dual_add_f32 v67, v68, v67
	v_add_f32_e32 v17, v169, v17
	s_delay_alu instid0(VALU_DEP_4) | instskip(SKIP_3) | instid1(VALU_DEP_4)
	v_fma_f32 v169, 0x3ee437d1, v56, -v132
	v_dual_mul_f32 v76, 0xbf2c7751, v76 :: v_dual_add_f32 v63, v69, v63
	v_fma_f32 v61, 0x3ee437d1, v44, -v61
	v_fma_f32 v68, 0x3dbcf732, v45, -v87
	v_add_f32_e32 v169, v169, v17
	v_fmamk_f32 v17, v55, 0x3f6eb680, v170
	v_fmac_f32_e32 v22, 0x3f3d2fb0, v56
	v_fmac_f32_e32 v66, 0x3ee437d1, v54
	v_mul_f32_e32 v80, 0xbeb8f4ab, v80
	v_dual_add_f32 v166, v1, v166 :: v_dual_fmamk_f32 v171, v46, 0x3f3d2fb0, v76
	v_dual_mul_f32 v74, 0xbf65296c, v74 :: v_dual_add_f32 v63, v68, v63
	v_add_f32_e32 v17, v17, v16
	v_fma_f32 v31, 0xbf1a4643, v35, -v31
	v_dual_fmac_f32 v112, 0xbe8c1d8e, v50 :: v_dual_fmac_f32 v117, 0xbe8c1d8e, v49
	v_dual_add_f32 v60, v61, v60 :: v_dual_add_f32 v61, v66, v67
	v_fma_f32 v16, 0x3f6eb680, v49, -v80
	v_dual_add_f32 v166, v171, v166 :: v_dual_fmamk_f32 v171, v45, 0x3ee437d1, v74
	v_dual_mul_f32 v172, 0xbf7ee86f, v72 :: v_dual_add_f32 v31, v31, v63
	s_delay_alu instid0(VALU_DEP_3) | instskip(SKIP_4) | instid1(VALU_DEP_4)
	v_add_f32_e32 v16, v0, v16
	v_fma_f32 v72, 0x3f3d2fb0, v50, -v81
	v_fma_f32 v57, 0xbe8c1d8e, v48, -v57
	v_mul_f32_e32 v82, 0xbf65296c, v82
	v_dual_add_f32 v166, v171, v166 :: v_dual_mul_f32 v73, 0xbf763a35, v73
	v_dual_fmamk_f32 v171, v35, 0x3dbcf732, v172 :: v_dual_add_f32 v16, v72, v16
	s_delay_alu instid0(VALU_DEP_4) | instskip(NEXT) | instid1(VALU_DEP_4)
	v_add_f32_e32 v57, v57, v60
	v_fma_f32 v72, 0x3ee437d1, v51, -v82
	v_fma_f32 v30, 0x3f6eb680, v43, -v30
	s_delay_alu instid0(VALU_DEP_4)
	v_add_f32_e32 v166, v171, v166
	v_fmamk_f32 v171, v43, 0xbe8c1d8e, v73
	v_fma_f32 v24, 0xbf7ba420, v44, -v24
	v_dual_add_f32 v16, v72, v16 :: v_dual_mul_f32 v79, 0xbf06c442, v79
	v_dual_mul_f32 v72, 0x3eb8f4ab, v110 :: v_dual_add_f32 v31, v30, v31
	v_fma_f32 v173, 0x3dbcf732, v52, -v83
	v_dual_fmac_f32 v92, 0xbf59a7d5, v49 :: v_dual_fmac_f32 v101, 0xbf59a7d5, v52
	v_fma_f32 v20, 0x3f3d2fb0, v48, -v20
	s_delay_alu instid0(VALU_DEP_4) | instskip(SKIP_3) | instid1(VALU_DEP_4)
	v_add_f32_e32 v24, v24, v31
	v_dual_add_f32 v166, v171, v166 :: v_dual_fmamk_f32 v175, v48, 0xbf59a7d5, v79
	v_dual_fmamk_f32 v171, v44, 0xbf1a4643, v75 :: v_dual_add_f32 v16, v173, v16
	v_dual_fmac_f32 v93, 0x3ee437d1, v50 :: v_dual_add_f32 v66, v0, v92
	v_dual_fmac_f32 v113, 0x3f6eb680, v51 :: v_dual_add_f32 v20, v20, v24
	v_fmac_f32_e32 v103, 0x3dbcf732, v53
	v_fma_f32 v19, 0xbe8c1d8e, v55, -v19
	v_dual_add_f32 v166, v171, v166 :: v_dual_fmac_f32 v65, 0xbe8c1d8e, v56
	v_add_f32_e32 v66, v93, v66
	s_delay_alu instid0(VALU_DEP_3) | instskip(SKIP_2) | instid1(VALU_DEP_3)
	v_dual_fmac_f32 v96, 0x3dbcf732, v51 :: v_dual_add_f32 v19, v19, v20
	v_mul_f32_e32 v84, 0xbf763a35, v84
	v_fma_f32 v174, 0x3f6eb680, v28, -v72
	v_dual_add_f32 v60, v65, v61 :: v_dual_add_f32 v61, v96, v66
	v_fmac_f32_e32 v99, 0xbf1a4643, v52
	s_delay_alu instid0(VALU_DEP_4) | instskip(SKIP_3) | instid1(VALU_DEP_4)
	v_fma_f32 v173, 0xbe8c1d8e, v53, -v84
	v_mul_f32_e32 v86, 0xbf06c442, v86
	v_fma_f32 v62, 0x3dbcf732, v55, -v62
	v_dual_add_f32 v166, v175, v166 :: v_dual_fmac_f32 v29, 0x3dbcf732, v28
	v_add_f32_e32 v171, v173, v16
	v_fma_f32 v173, 0xbf1a4643, v54, -v85
	v_add_f32_e32 v16, v174, v169
	s_delay_alu instid0(VALU_DEP_4) | instskip(SKIP_1) | instid1(VALU_DEP_4)
	v_dual_mul_f32 v78, 0xbe3c28d5, v78 :: v_dual_add_f32 v29, v29, v60
	v_add_f32_e32 v61, v99, v61
	v_add_f32_e32 v169, v173, v171
	v_fma_f32 v171, 0xbf59a7d5, v56, -v86
	v_mul_f32_e32 v64, 0xbe3c28d5, v110
	v_dual_add_f32 v30, v62, v57 :: v_dual_fmac_f32 v91, 0x3f3d2fb0, v54
	v_fma_f32 v57, 0xbf1a4643, v47, -v97
	s_delay_alu instid0(VALU_DEP_4)
	v_add_f32_e32 v169, v171, v169
	v_dual_fmamk_f32 v110, v55, 0xbf7ba420, v78 :: v_dual_fmac_f32 v21, 0xbf7ba420, v54
	v_add_f32_e32 v25, v25, v61
	v_fma_f32 v70, 0xbf7ba420, v28, -v64
	v_add_f32_e32 v31, v1, v57
	v_fma_f32 v57, 0xbe8c1d8e, v46, -v98
	v_fma_f32 v24, 0xbf59a7d5, v35, -v26
	v_add_f32_e32 v21, v21, v25
	v_dual_add_f32 v58, v70, v169 :: v_dual_fmac_f32 v27, 0xbf7ba420, v56
	s_delay_alu instid0(VALU_DEP_4) | instskip(SKIP_4) | instid1(VALU_DEP_4)
	v_add_f32_e32 v25, v57, v31
	v_fma_f32 v31, 0x3f6eb680, v45, -v90
	v_add_f32_e32 v57, v0, v108
	v_add_f32_e32 v21, v22, v21
	v_fma_f32 v20, 0xbe8c1d8e, v47, -v120
	v_dual_fmac_f32 v119, 0x3f3d2fb0, v51 :: v_dual_add_f32 v22, v31, v25
	s_delay_alu instid0(VALU_DEP_4) | instskip(SKIP_1) | instid1(VALU_DEP_4)
	v_dual_add_f32 v25, v112, v57 :: v_dual_fmac_f32 v18, 0xbe8c1d8e, v28
	v_fma_f32 v23, 0x3ee437d1, v55, -v23
	v_dual_add_f32 v20, v1, v20 :: v_dual_fmac_f32 v107, 0x3dbcf732, v54
	s_delay_alu instid0(VALU_DEP_4) | instskip(SKIP_4) | instid1(VALU_DEP_4)
	v_add_f32_e32 v22, v24, v22
	v_fma_f32 v24, 0x3dbcf732, v43, -v94
	v_add_f32_e32 v25, v113, v25
	v_fma_f32 v26, 0xbf59a7d5, v46, -v121
	v_dual_add_f32 v18, v18, v21 :: v_dual_fmac_f32 v139, 0xbf7ba420, v51
	v_add_f32_e32 v22, v24, v22
	v_fma_f32 v24, 0x3f3d2fb0, v44, -v105
	v_add_f32_e32 v25, v101, v25
	v_fmac_f32_e32 v142, 0x3dbcf732, v49
	v_dual_add_f32 v20, v26, v20 :: v_dual_fmac_f32 v143, 0xbf7ba420, v50
	s_delay_alu instid0(VALU_DEP_3)
	v_dual_add_f32 v21, v24, v22 :: v_dual_add_f32 v22, v103, v25
	v_fma_f32 v24, 0x3f3d2fb0, v45, -v148
	v_fma_f32 v25, 0xbf7ba420, v48, -v100
	v_fmac_f32_e32 v102, 0x3ee437d1, v28
	v_fma_f32 v31, 0xbf59a7d5, v44, -v153
	v_add_f32_e32 v22, v91, v22
	v_dual_fmac_f32 v144, 0xbe8c1d8e, v51 :: v_dual_fmac_f32 v137, 0xbe8c1d8e, v52
	v_add_f32_e32 v21, v25, v21
	s_delay_alu instid0(VALU_DEP_3)
	v_dual_fmac_f32 v145, 0x3f6eb680, v52 :: v_dual_add_f32 v22, v27, v22
	v_add_f32_e32 v27, v0, v142
	v_add_f32_e32 v20, v24, v20
	v_fma_f32 v24, 0x3ee437d1, v35, -v123
	v_add_f32_e32 v26, v0, v117
	v_fmac_f32_e32 v157, 0x3ee437d1, v49
	v_dual_add_f32 v27, v143, v27 :: v_dual_fmac_f32 v114, 0x3ee437d1, v52
	s_delay_alu instid0(VALU_DEP_4)
	v_add_f32_e32 v20, v24, v20
	v_fma_f32 v24, 0xbf7ba420, v43, -v124
	v_add_f32_e32 v25, v118, v26
	v_fma_f32 v26, 0x3dbcf732, v44, -v125
	;; [unrolled: 2-line block ×3, first 2 shown]
	v_add_f32_e32 v24, v24, v20
	v_dual_add_f32 v20, v102, v22 :: v_dual_fmac_f32 v111, 0xbf1a4643, v28
	v_dual_add_f32 v25, v119, v25 :: v_dual_fmac_f32 v140, 0x3f6eb680, v54
	s_delay_alu instid0(VALU_DEP_3) | instskip(SKIP_4) | instid1(VALU_DEP_4)
	v_add_f32_e32 v22, v26, v24
	v_fma_f32 v26, 0x3f6eb680, v48, -v115
	v_dual_fmac_f32 v122, 0x3ee437d1, v53 :: v_dual_add_f32 v23, v1, v23
	v_fmac_f32_e32 v109, 0x3f3d2fb0, v28
	v_fmac_f32_e32 v128, 0xbf1a4643, v51
	v_add_f32_e32 v22, v26, v22
	v_add_f32_e32 v26, v144, v27
	v_fmac_f32_e32 v154, 0x3dbcf732, v56
	v_fmac_f32_e32 v116, 0xbf59a7d5, v54
	;; [unrolled: 1-line block ×4, first 2 shown]
	v_add_f32_e32 v26, v145, v26
	v_fma_f32 v27, 0xbf1a4643, v55, -v95
	v_fma_f32 v60, 0x3dbcf732, v46, -v162
	v_fmac_f32_e32 v104, 0x3f6eb680, v56
	v_fma_f32 v57, 0xbf1a4643, v46, -v158
	v_add_f32_e32 v26, v122, v26
	v_add_f32_e32 v24, v114, v25
	v_fma_f32 v25, 0xbf7ba420, v46, -v146
	v_fmac_f32_e32 v138, 0x3f3d2fb0, v53
	v_fmac_f32_e32 v38, 0xbf1a4643, v56
	;; [unrolled: 1-line block ×3, first 2 shown]
	s_delay_alu instid0(VALU_DEP_4) | instskip(SKIP_3) | instid1(VALU_DEP_4)
	v_dual_add_f32 v24, v106, v24 :: v_dual_add_f32 v23, v25, v23
	v_fma_f32 v25, 0xbe8c1d8e, v45, -v150
	v_fmac_f32_e32 v129, 0xbf7ba420, v52
	v_fmac_f32_e32 v155, 0xbf59a7d5, v28
	v_dual_add_f32 v24, v107, v24 :: v_dual_fmac_f32 v127, 0x3dbcf732, v50
	s_delay_alu instid0(VALU_DEP_4) | instskip(SKIP_1) | instid1(VALU_DEP_3)
	v_add_f32_e32 v23, v25, v23
	v_fma_f32 v25, 0x3f6eb680, v35, -v151
	v_dual_fmac_f32 v81, 0x3f3d2fb0, v50 :: v_dual_add_f32 v24, v104, v24
	v_add_f32_e32 v59, v110, v166
	v_fmac_f32_e32 v83, 0x3dbcf732, v52
	s_delay_alu instid0(VALU_DEP_4) | instskip(SKIP_4) | instid1(VALU_DEP_4)
	v_add_f32_e32 v23, v25, v23
	v_fma_f32 v25, 0x3ee437d1, v43, -v152
	v_fmac_f32_e32 v85, 0xbf1a4643, v54
	v_fmac_f32_e32 v130, 0xbf59a7d5, v53
	v_dual_fmac_f32 v84, 0xbe8c1d8e, v53 :: v_dual_fmac_f32 v131, 0xbe8c1d8e, v54
	v_add_f32_e32 v25, v25, v23
	v_add_f32_e32 v23, v27, v22
	v_fma_f32 v22, 0x3ee437d1, v47, -v156
	v_fma_f32 v27, 0xbf1a4643, v48, -v133
	s_delay_alu instid0(VALU_DEP_4) | instskip(NEXT) | instid1(VALU_DEP_3)
	v_dual_fmac_f32 v132, 0x3ee437d1, v56 :: v_dual_add_f32 v25, v31, v25
	v_dual_fmac_f32 v86, 0xbf59a7d5, v56 :: v_dual_add_f32 v31, v1, v22
	v_add_f32_e32 v22, v111, v24
	v_fmac_f32_e32 v72, 0x3f6eb680, v28
	s_delay_alu instid0(VALU_DEP_4) | instskip(NEXT) | instid1(VALU_DEP_4)
	v_dual_add_f32 v24, v27, v25 :: v_dual_add_f32 v25, v116, v26
	v_add_f32_e32 v26, v57, v31
	v_fma_f32 v27, 0xbf7ba420, v45, -v160
	v_add_f32_e32 v31, v0, v157
	v_fma_f32 v57, 0x3f3d2fb0, v47, -v161
	;; [unrolled: 2-line block ×4, first 2 shown]
	v_add_f32_e32 v31, v136, v31
	v_add_f32_e32 v57, v1, v57
	;; [unrolled: 1-line block ×3, first 2 shown]
	v_fma_f32 v24, 0xbf7ba420, v35, -v164
	v_add_f32_e32 v26, v27, v26
	v_fma_f32 v27, 0x3f3d2fb0, v43, -v149
	v_add_f32_e32 v31, v139, v31
	v_add_f32_e32 v57, v60, v57
	v_fma_f32 v60, 0xbf1a4643, v45, -v163
	v_fma_f32 v35, 0x3dbcf732, v35, -v172
	s_delay_alu instid0(VALU_DEP_4) | instskip(SKIP_1) | instid1(VALU_DEP_4)
	v_dual_add_f32 v26, v27, v26 :: v_dual_add_f32 v27, v137, v31
	v_fma_f32 v39, 0x3f6eb680, v44, -v134
	v_add_f32_e32 v31, v60, v57
	v_fma_f32 v60, 0x3ee437d1, v48, -v168
	v_fmac_f32_e32 v64, 0xbf7ba420, v28
	v_lshl_add_u32 v28, v34, 7, v40
	s_delay_alu instid0(VALU_DEP_4) | instskip(SKIP_1) | instid1(VALU_DEP_1)
	v_add_f32_e32 v24, v24, v31
	v_fma_f32 v31, 0xbf59a7d5, v43, -v165
	v_add_f32_e32 v24, v31, v24
	v_fma_f32 v31, 0xbe8c1d8e, v44, -v167
	s_delay_alu instid0(VALU_DEP_1) | instskip(SKIP_2) | instid1(VALU_DEP_3)
	v_dual_add_f32 v31, v31, v24 :: v_dual_add_f32 v24, v109, v38
	v_fma_f32 v38, 0x3f6eb680, v47, -v77
	v_add_f32_e32 v47, v0, v126
	v_add_f32_e32 v31, v60, v31
	s_delay_alu instid0(VALU_DEP_3) | instskip(SKIP_2) | instid1(VALU_DEP_2)
	v_add_f32_e32 v1, v1, v38
	v_fma_f32 v38, 0x3f3d2fb0, v46, -v76
	v_add_f32_e32 v27, v138, v27
	v_dual_add_f32 v46, v127, v47 :: v_dual_add_f32 v1, v38, v1
	v_fma_f32 v38, 0x3ee437d1, v45, -v74
	s_delay_alu instid0(VALU_DEP_1) | instskip(SKIP_1) | instid1(VALU_DEP_2)
	v_dual_add_f32 v1, v38, v1 :: v_dual_add_f32 v26, v39, v26
	v_fma_f32 v39, 0x3dbcf732, v48, -v135
	v_add_f32_e32 v1, v35, v1
	v_fma_f32 v35, 0xbe8c1d8e, v43, -v73
	s_delay_alu instid0(VALU_DEP_3) | instskip(SKIP_2) | instid1(VALU_DEP_4)
	v_dual_add_f32 v27, v140, v27 :: v_dual_add_f32 v26, v39, v26
	v_fma_f32 v39, 0xbf59a7d5, v55, -v159
	v_fma_f32 v43, 0xbf7ba420, v55, -v78
	v_add_f32_e32 v1, v35, v1
	v_fma_f32 v35, 0xbf1a4643, v44, -v75
	s_delay_alu instid0(VALU_DEP_1) | instskip(SKIP_4) | instid1(VALU_DEP_4)
	v_add_f32_e32 v1, v35, v1
	v_fma_f32 v35, 0xbf59a7d5, v48, -v79
	v_dual_fmac_f32 v82, 0x3ee437d1, v51 :: v_dual_add_f32 v45, v128, v46
	v_add_f32_e32 v57, v154, v27
	v_add_f32_e32 v27, v39, v26
	v_add_f32_e32 v35, v35, v1
	v_fma_f32 v39, 0x3f6eb680, v55, -v170
	v_fmac_f32_e32 v80, 0x3f6eb680, v49
	v_add_f32_e32 v38, v129, v45
	v_add_f32_e32 v26, v155, v57
	s_delay_alu instid0(VALU_DEP_4) | instskip(NEXT) | instid1(VALU_DEP_4)
	v_add_f32_e32 v1, v39, v31
	v_dual_add_f32 v39, v43, v35 :: v_dual_add_f32 v0, v0, v80
	s_delay_alu instid0(VALU_DEP_4) | instskip(NEXT) | instid1(VALU_DEP_2)
	v_add_f32_e32 v38, v130, v38
	v_add_f32_e32 v0, v81, v0
	s_delay_alu instid0(VALU_DEP_2) | instskip(NEXT) | instid1(VALU_DEP_2)
	v_add_f32_e32 v38, v131, v38
	v_add_f32_e32 v0, v82, v0
	s_delay_alu instid0(VALU_DEP_2) | instskip(NEXT) | instid1(VALU_DEP_2)
	v_add_f32_e32 v38, v132, v38
	v_add_f32_e32 v0, v83, v0
	s_delay_alu instid0(VALU_DEP_1) | instskip(NEXT) | instid1(VALU_DEP_1)
	v_add_f32_e32 v0, v84, v0
	v_add_f32_e32 v0, v85, v0
	s_delay_alu instid0(VALU_DEP_1) | instskip(SKIP_1) | instid1(VALU_DEP_2)
	v_add_f32_e32 v44, v86, v0
	v_add_f32_e32 v0, v72, v38
	;; [unrolled: 1-line block ×3, first 2 shown]
	ds_store_2addr_b64 v28, v[4:5], v[58:59] offset1:1
	ds_store_2addr_b64 v28, v[16:17], v[14:15] offset0:2 offset1:3
	ds_store_2addr_b64 v28, v[12:13], v[10:11] offset0:4 offset1:5
	;; [unrolled: 1-line block ×7, first 2 shown]
	ds_store_b64 v28, v[38:39] offset:128
.LBB0_15:
	s_wait_alu 0xfffe
	s_or_b32 exec_lo, exec_lo, s1
	v_and_b32_e32 v0, 0xff, v34
	v_add_nc_u16 v1, v34, 51
	v_add_nc_u16 v2, v34, 0x66
	;; [unrolled: 1-line block ×3, first 2 shown]
	s_load_b64 s[2:3], s[2:3], 0x0
	v_mul_lo_u16 v0, 0xf1, v0
	v_and_b32_e32 v3, 0xff, v1
	global_wb scope:SCOPE_SE
	s_wait_dscnt 0x0
	v_and_b32_e32 v6, 0xff, v4
	s_wait_kmcnt 0x0
	s_barrier_signal -1
	v_lshrrev_b16 v35, 12, v0
	v_and_b32_e32 v0, 0xff, v2
	v_mul_lo_u16 v3, 0xf1, v3
	s_barrier_wait -1
	global_inv scope:SCOPE_SE
	v_mul_lo_u16 v5, v35, 17
	v_mul_lo_u16 v0, 0xf1, v0
	v_lshrrev_b16 v49, 12, v3
	v_and_b32_e32 v35, 0xffff, v35
	v_mul_u32_u24_e32 v56, 5, v34
	v_sub_nc_u16 v3, v34, v5
	v_mul_lo_u16 v5, 0xf1, v6
	v_lshrrev_b16 v50, 12, v0
	v_mul_lo_u16 v0, v49, 17
	v_mul_u32_u24_e32 v35, 0x198, v35
	v_and_b32_e32 v51, 0xff, v3
	v_lshrrev_b16 v52, 12, v5
	v_mul_lo_u16 v3, v50, 17
	v_sub_nc_u16 v0, v1, v0
	v_and_b32_e32 v49, 0xffff, v49
	v_lshlrev_b32_e32 v1, 4, v51
	v_mul_lo_u16 v5, v52, 17
	v_sub_nc_u16 v6, v2, v3
	v_and_b32_e32 v53, 0xff, v0
	v_mul_u32_u24_e32 v49, 0x198, v49
	global_load_b128 v[0:3], v1, s[8:9]
	v_sub_nc_u16 v4, v4, v5
	v_and_b32_e32 v54, 0xff, v6
	v_lshlrev_b32_e32 v5, 4, v53
	s_delay_alu instid0(VALU_DEP_3)
	v_and_b32_e32 v55, 0xff, v4
	global_load_b128 v[4:7], v5, s[8:9]
	v_lshlrev_b32_e32 v8, 4, v54
	v_lshlrev_b32_e32 v12, 4, v55
	s_clause 0x1
	global_load_b128 v[8:11], v8, s[8:9]
	global_load_b128 v[12:15], v12, s[8:9]
	ds_load_2addr_b64 v[16:19], v40 offset1:51
	ds_load_2addr_b64 v[20:23], v40 offset0:204 offset1:255
	ds_load_2addr_b64 v[24:27], v41 offset0:101 offset1:152
	;; [unrolled: 1-line block ×3, first 2 shown]
	v_lshlrev_b32_e32 v51, 3, v51
	ds_load_2addr_b64 v[43:46], v40 offset0:102 offset1:153
	ds_load_2addr_b32 v[38:39], v41 offset0:100 offset1:101
	ds_load_b64 v[47:48], v40 offset:4488
	v_and_b32_e32 v50, 0xffff, v50
	v_and_b32_e32 v52, 0xffff, v52
	v_lshlrev_b32_e32 v56, 3, v56
	v_add3_u32 v35, 0, v35, v51
	v_lshlrev_b32_e32 v51, 3, v53
	global_wb scope:SCOPE_SE
	s_wait_loadcnt_dscnt 0x0
	s_barrier_signal -1
	s_barrier_wait -1
	global_inv scope:SCOPE_SE
	v_add3_u32 v49, 0, v49, v51
	v_mul_f32_e32 v51, v1, v21
	v_mul_f32_e32 v1, v1, v20
	s_delay_alu instid0(VALU_DEP_2) | instskip(NEXT) | instid1(VALU_DEP_2)
	v_fma_f32 v20, v0, v20, -v51
	v_fmac_f32_e32 v1, v0, v21
	v_mul_f32_e32 v21, v7, v29
	v_mul_u32_u24_e32 v50, 0x198, v50
	s_delay_alu instid0(VALU_DEP_2) | instskip(SKIP_1) | instid1(VALU_DEP_1)
	v_fma_f32 v21, v6, v28, -v21
	v_lshlrev_b32_e32 v53, 3, v54
	v_add3_u32 v50, 0, v50, v53
	v_mul_f32_e32 v53, v3, v27
	v_mul_f32_e32 v3, v3, v26
	s_delay_alu instid0(VALU_DEP_2) | instskip(NEXT) | instid1(VALU_DEP_2)
	v_fma_f32 v0, v2, v26, -v53
	v_fmac_f32_e32 v3, v2, v27
	v_mul_f32_e32 v2, v5, v23
	v_dual_mul_f32 v5, v5, v22 :: v_dual_mul_f32 v26, v39, v9
	v_mul_f32_e32 v9, v9, v38
	v_mul_u32_u24_e32 v52, 0x198, v52
	s_delay_alu instid0(VALU_DEP_4)
	v_fma_f32 v22, v4, v22, -v2
	v_mul_f32_e32 v7, v7, v28
	v_fmac_f32_e32 v5, v4, v23
	v_fma_f32 v4, v8, v38, -v26
	v_mul_f32_e32 v51, v25, v13
	v_mul_f32_e32 v27, v31, v11
	v_fmac_f32_e32 v7, v6, v29
	v_fmac_f32_e32 v9, v39, v8
	v_mul_f32_e32 v11, v30, v11
	v_fma_f32 v6, v24, v12, -v51
	v_dual_mul_f32 v13, v24, v13 :: v_dual_add_f32 v24, v1, v3
	v_lshlrev_b32_e32 v54, 3, v55
	v_fma_f32 v8, v30, v10, -v27
	v_add_f32_e32 v2, v16, v20
	s_delay_alu instid0(VALU_DEP_4)
	v_fmac_f32_e32 v13, v25, v12
	v_dual_add_f32 v25, v43, v4 :: v_dual_add_f32 v28, v44, v9
	v_dual_fmac_f32 v11, v31, v10 :: v_dual_add_f32 v10, v20, v0
	v_sub_f32_e32 v20, v20, v0
	v_dual_add_f32 v0, v2, v0 :: v_dual_add_f32 v31, v45, v6
	v_add_f32_e32 v26, v4, v8
	s_delay_alu instid0(VALU_DEP_4) | instskip(SKIP_4) | instid1(VALU_DEP_4)
	v_fma_f32 v2, -0.5, v10, v16
	v_mul_f32_e32 v53, v48, v15
	v_dual_mul_f32 v15, v47, v15 :: v_dual_add_f32 v10, v18, v22
	v_add_f32_e32 v16, v22, v21
	v_sub_f32_e32 v30, v4, v8
	v_fma_f32 v12, v47, v14, -v53
	s_delay_alu instid0(VALU_DEP_4) | instskip(NEXT) | instid1(VALU_DEP_4)
	v_dual_fmac_f32 v15, v48, v14 :: v_dual_sub_f32 v14, v1, v3
	v_fma_f32 v18, -0.5, v16, v18
	v_add_f32_e32 v8, v25, v8
	s_delay_alu instid0(VALU_DEP_4)
	v_add_f32_e32 v38, v6, v12
	v_sub_f32_e32 v51, v6, v12
	v_add_f32_e32 v12, v31, v12
	v_add_f32_e32 v48, v13, v15
	;; [unrolled: 1-line block ×4, first 2 shown]
	v_fma_f32 v10, -0.5, v26, v43
	v_fma_f32 v45, -0.5, v38, v45
	v_sub_f32_e32 v27, v9, v11
	v_add_f32_e32 v1, v23, v3
	v_fma_f32 v3, -0.5, v24, v17
	v_sub_f32_e32 v17, v5, v7
	v_add_f32_e32 v24, v5, v7
	v_dual_fmamk_f32 v16, v27, 0x3f5db3d7, v10 :: v_dual_add_f32 v29, v9, v11
	v_add_f32_e32 v23, v19, v5
	v_sub_f32_e32 v22, v22, v21
	v_fmamk_f32 v4, v14, 0x3f5db3d7, v2
	v_dual_fmac_f32 v2, 0xbf5db3d7, v14 :: v_dual_fmac_f32 v19, -0.5, v24
	v_fmamk_f32 v14, v17, 0x3f5db3d7, v18
	v_dual_fmac_f32 v18, 0xbf5db3d7, v17 :: v_dual_sub_f32 v39, v13, v15
	v_add_f32_e32 v47, v46, v13
	v_add_f32_e32 v9, v28, v11
	v_fma_f32 v11, -0.5, v29, v44
	v_dual_fmamk_f32 v5, v20, 0xbf5db3d7, v3 :: v_dual_fmac_f32 v46, -0.5, v48
	v_fmac_f32_e32 v3, 0x3f5db3d7, v20
	v_add_f32_e32 v13, v47, v15
	v_fmamk_f32 v15, v22, 0xbf5db3d7, v19
	v_fmamk_f32 v20, v39, 0x3f5db3d7, v45
	v_fmac_f32_e32 v10, 0xbf5db3d7, v27
	v_add_f32_e32 v7, v23, v7
	v_fmac_f32_e32 v19, 0x3f5db3d7, v22
	v_fmamk_f32 v17, v30, 0xbf5db3d7, v11
	v_fmac_f32_e32 v11, 0x3f5db3d7, v30
	v_add3_u32 v52, 0, v52, v54
	v_fmac_f32_e32 v45, 0xbf5db3d7, v39
	v_fmamk_f32 v21, v51, 0xbf5db3d7, v46
	v_fmac_f32_e32 v46, 0x3f5db3d7, v51
	ds_store_2addr_b64 v35, v[0:1], v[4:5] offset1:17
	ds_store_b64 v35, v[2:3] offset:272
	ds_store_2addr_b64 v49, v[6:7], v[14:15] offset1:17
	ds_store_b64 v49, v[18:19] offset:272
	;; [unrolled: 2-line block ×4, first 2 shown]
	global_wb scope:SCOPE_SE
	s_wait_dscnt 0x0
	s_barrier_signal -1
	s_barrier_wait -1
	global_inv scope:SCOPE_SE
	s_clause 0x2
	global_load_b128 v[4:7], v56, s[8:9] offset:272
	global_load_b128 v[8:11], v56, s[8:9] offset:288
	global_load_b64 v[38:39], v56, s[8:9] offset:304
	ds_load_2addr_b64 v[12:15], v40 offset0:102 offset1:153
	ds_load_2addr_b64 v[16:19], v40 offset0:204 offset1:255
	;; [unrolled: 1-line block ×5, first 2 shown]
	ds_load_2addr_b64 v[43:46], v40 offset1:51
	global_wb scope:SCOPE_SE
	s_wait_loadcnt_dscnt 0x0
	s_barrier_signal -1
	s_barrier_wait -1
	global_inv scope:SCOPE_SE
	v_mul_f32_e32 v57, v14, v5
	v_mul_f32_e32 v50, v9, v21
	v_dual_mul_f32 v51, v9, v20 :: v_dual_mul_f32 v58, v23, v9
	v_mul_f32_e32 v9, v22, v9
	v_mul_f32_e32 v49, v7, v16
	v_mul_f32_e32 v52, v11, v25
	v_fmac_f32_e32 v57, v15, v4
	v_mul_f32_e32 v48, v7, v17
	v_fmac_f32_e32 v9, v23, v8
	v_dual_mov_b32 v35, 0 :: v_dual_mul_f32 v54, v39, v29
	v_fmac_f32_e32 v49, v6, v17
	v_fma_f32 v17, v10, v24, -v52
	v_mul_f32_e32 v47, v5, v12
	s_delay_alu instid0(VALU_DEP_4)
	v_lshlrev_b64_e32 v[0:1], 3, v[34:35]
	v_mul_f32_e32 v35, v5, v13
	v_mul_f32_e32 v56, v15, v5
	v_mul_f32_e32 v5, v19, v7
	v_fmac_f32_e32 v47, v4, v13
	v_fma_f32 v13, v6, v16, -v48
	v_fma_f32 v12, v4, v12, -v35
	v_fma_f32 v16, v8, v20, -v50
	v_fma_f32 v20, v38, v28, -v54
	v_fma_f32 v14, v14, v4, -v56
	v_fma_f32 v4, v18, v6, -v5
	v_fma_f32 v5, v22, v8, -v58
	v_add_f32_e32 v22, v12, v16
	v_add_f32_e32 v23, v16, v20
	v_mul_f32_e32 v53, v11, v24
	v_sub_f32_e32 v16, v16, v20
	v_mul_f32_e32 v60, v31, v39
	v_dual_add_f32 v20, v22, v20 :: v_dual_mul_f32 v59, v27, v11
	v_mul_f32_e32 v11, v26, v11
	v_fmac_f32_e32 v12, -0.5, v23
	v_mul_f32_e32 v7, v18, v7
	v_add_f32_e32 v15, v13, v17
	v_add_co_u32 v2, s0, s8, v0
	v_fmac_f32_e32 v11, v27, v10
	s_delay_alu instid0(VALU_DEP_4)
	v_fmac_f32_e32 v7, v19, v6
	v_fma_f32 v6, v26, v10, -v59
	v_add_f32_e32 v27, v45, v4
	v_add_f32_e32 v19, v44, v49
	s_wait_alu 0xf1ff
	v_add_co_ci_u32_e64 v3, s0, s9, v1, s0
	v_cmp_ne_u32_e64 s0, 0, v34
	v_dual_add_f32 v22, v27, v6 :: v_dual_fmac_f32 v51, v8, v21
	v_fma_f32 v8, v30, v38, -v60
	s_delay_alu instid0(VALU_DEP_1) | instskip(SKIP_2) | instid1(VALU_DEP_1)
	v_add_f32_e32 v35, v5, v8
	v_mul_f32_e32 v55, v39, v28
	v_dual_mul_f32 v39, v30, v39 :: v_dual_add_f32 v28, v4, v6
	v_dual_add_f32 v30, v46, v7 :: v_dual_fmac_f32 v39, v31, v38
	v_dual_sub_f32 v31, v4, v6 :: v_dual_add_f32 v4, v14, v5
	s_delay_alu instid0(VALU_DEP_4) | instskip(SKIP_2) | instid1(VALU_DEP_4)
	v_dual_fmac_f32 v14, -0.5, v35 :: v_dual_fmac_f32 v55, v38, v29
	v_sub_f32_e32 v29, v7, v11
	v_add_f32_e32 v7, v7, v11
	v_dual_add_f32 v23, v4, v8 :: v_dual_sub_f32 v38, v9, v39
	s_delay_alu instid0(VALU_DEP_4) | instskip(NEXT) | instid1(VALU_DEP_3)
	v_sub_f32_e32 v24, v51, v55
	v_dual_fmac_f32 v46, -0.5, v7 :: v_dual_fmac_f32 v53, v10, v25
	v_add_f32_e32 v10, v43, v13
	v_sub_f32_e32 v13, v13, v17
	s_delay_alu instid0(VALU_DEP_3) | instskip(NEXT) | instid1(VALU_DEP_3)
	v_add_f32_e32 v21, v49, v53
	v_add_f32_e32 v10, v10, v17
	v_fma_f32 v17, -0.5, v15, v43
	v_add_f32_e32 v15, v19, v53
	s_delay_alu instid0(VALU_DEP_4) | instskip(NEXT) | instid1(VALU_DEP_4)
	v_fma_f32 v19, -0.5, v21, v44
	v_dual_sub_f32 v6, v10, v20 :: v_dual_add_f32 v25, v47, v51
	v_add_f32_e32 v4, v10, v20
	v_sub_f32_e32 v10, v22, v23
	s_delay_alu instid0(VALU_DEP_3)
	v_add_f32_e32 v21, v25, v55
	v_fma_f32 v25, -0.5, v28, v45
	v_fmamk_f32 v28, v13, 0xbf5db3d7, v19
	v_fmac_f32_e32 v19, 0x3f5db3d7, v13
	v_fmamk_f32 v13, v24, 0x3f5db3d7, v12
	v_fmac_f32_e32 v12, 0xbf5db3d7, v24
	;; [unrolled: 2-line block ×4, first 2 shown]
	v_sub_f32_e32 v18, v49, v53
	v_dual_sub_f32 v49, v5, v8 :: v_dual_add_f32 v8, v22, v23
	v_add_f32_e32 v26, v51, v55
	v_add_f32_e32 v5, v15, v21
	s_delay_alu instid0(VALU_DEP_4)
	v_fmamk_f32 v27, v18, 0x3f5db3d7, v17
	v_fmac_f32_e32 v17, 0xbf5db3d7, v18
	v_sub_f32_e32 v7, v15, v21
	v_fmac_f32_e32 v47, -0.5, v26
	v_fmamk_f32 v15, v38, 0x3f5db3d7, v14
	v_fmac_f32_e32 v14, 0xbf5db3d7, v38
	v_dual_mul_f32 v22, 0xbf5db3d7, v13 :: v_dual_mul_f32 v21, -0.5, v12
	s_delay_alu instid0(VALU_DEP_4) | instskip(SKIP_2) | instid1(VALU_DEP_2)
	v_fmamk_f32 v18, v16, 0xbf5db3d7, v47
	v_fmac_f32_e32 v47, 0x3f5db3d7, v16
	v_mul_f32_e32 v31, 0xbf5db3d7, v15
	v_dual_mul_f32 v20, 0x3f5db3d7, v18 :: v_dual_mul_f32 v23, -0.5, v47
	v_dual_fmac_f32 v22, 0.5, v18 :: v_dual_fmac_f32 v21, 0x3f5db3d7, v47
	s_delay_alu instid0(VALU_DEP_2)
	v_dual_fmac_f32 v20, 0.5, v13 :: v_dual_add_f32 v11, v30, v11
	v_mul_f32_e32 v30, -0.5, v14
	v_add_f32_e32 v48, v57, v9
	v_add_f32_e32 v9, v9, v39
	v_fmac_f32_e32 v23, 0xbf5db3d7, v12
	v_dual_add_f32 v12, v27, v20 :: v_dual_add_f32 v13, v28, v22
	s_delay_alu instid0(VALU_DEP_3) | instskip(NEXT) | instid1(VALU_DEP_1)
	v_dual_add_f32 v26, v48, v39 :: v_dual_fmac_f32 v57, -0.5, v9
	v_dual_sub_f32 v18, v17, v21 :: v_dual_add_f32 v9, v11, v26
	s_delay_alu instid0(VALU_DEP_2) | instskip(SKIP_1) | instid1(VALU_DEP_2)
	v_fmamk_f32 v16, v49, 0xbf5db3d7, v57
	v_fmac_f32_e32 v57, 0x3f5db3d7, v49
	v_dual_sub_f32 v11, v11, v26 :: v_dual_mul_f32 v26, 0x3f5db3d7, v16
	s_delay_alu instid0(VALU_DEP_2) | instskip(SKIP_2) | instid1(VALU_DEP_3)
	v_mul_f32_e32 v35, -0.5, v57
	v_dual_fmac_f32 v31, 0.5, v16 :: v_dual_fmac_f32 v30, 0x3f5db3d7, v57
	v_sub_f32_e32 v16, v27, v20
	v_dual_fmac_f32 v26, 0.5, v15 :: v_dual_fmac_f32 v35, 0xbf5db3d7, v14
	v_dual_add_f32 v14, v17, v21 :: v_dual_add_f32 v15, v19, v23
	v_sub_f32_e32 v17, v28, v22
	s_delay_alu instid0(VALU_DEP_3)
	v_dual_sub_f32 v19, v19, v23 :: v_dual_add_f32 v20, v24, v26
	v_add_f32_e32 v21, v29, v31
	v_dual_add_f32 v22, v25, v30 :: v_dual_add_f32 v23, v46, v35
	v_sub_f32_e32 v24, v24, v26
	v_sub_f32_e32 v26, v25, v30
	;; [unrolled: 1-line block ×4, first 2 shown]
	ds_store_2addr_b64 v40, v[4:5], v[12:13] offset1:51
	ds_store_2addr_b64 v40, v[14:15], v[6:7] offset0:102 offset1:153
	ds_store_2addr_b64 v40, v[16:17], v[18:19] offset0:204 offset1:255
	;; [unrolled: 1-line block ×5, first 2 shown]
	global_wb scope:SCOPE_SE
	s_wait_dscnt 0x0
	s_barrier_signal -1
	s_barrier_wait -1
	global_inv scope:SCOPE_SE
	s_clause 0x5
	global_load_b64 v[28:29], v[2:3], off offset:2312
	global_load_b64 v[30:31], v[2:3], off offset:2720
	;; [unrolled: 1-line block ×6, first 2 shown]
	ds_load_2addr_b64 v[4:7], v41 offset0:50 offset1:101
	ds_load_2addr_b64 v[8:11], v41 offset0:152 offset1:203
	;; [unrolled: 1-line block ×3, first 2 shown]
	ds_load_2addr_b64 v[16:19], v40 offset1:51
	ds_load_2addr_b64 v[20:23], v40 offset0:102 offset1:153
	ds_load_2addr_b64 v[24:27], v40 offset0:204 offset1:255
	global_wb scope:SCOPE_SE
	s_wait_loadcnt_dscnt 0x0
	s_barrier_signal -1
	s_barrier_wait -1
	global_inv scope:SCOPE_SE
	v_mul_f32_e32 v35, v29, v5
	v_mul_f32_e32 v29, v29, v4
	;; [unrolled: 1-line block ×12, first 2 shown]
	v_fma_f32 v4, v28, v4, -v35
	v_fmac_f32_e32 v29, v28, v5
	v_fma_f32 v6, v30, v6, -v49
	v_fmac_f32_e32 v31, v30, v7
	v_fmac_f32_e32 v48, v15, v47
	v_fma_f32 v8, v38, v8, -v50
	v_fmac_f32_e32 v39, v38, v9
	v_fma_f32 v10, v43, v10, -v51
	;; [unrolled: 2-line block ×4, first 2 shown]
	v_dual_sub_f32 v4, v16, v4 :: v_dual_sub_f32 v5, v17, v29
	v_dual_sub_f32 v6, v18, v6 :: v_dual_sub_f32 v7, v19, v31
	;; [unrolled: 1-line block ×6, first 2 shown]
	v_fma_f32 v16, v16, 2.0, -v4
	v_fma_f32 v17, v17, 2.0, -v5
	v_fma_f32 v18, v18, 2.0, -v6
	v_fma_f32 v19, v19, 2.0, -v7
	v_fma_f32 v20, v20, 2.0, -v8
	v_fma_f32 v21, v21, 2.0, -v9
	v_fma_f32 v22, v22, 2.0, -v10
	v_fma_f32 v23, v23, 2.0, -v11
	v_fma_f32 v24, v24, 2.0, -v12
	v_fma_f32 v25, v25, 2.0, -v13
	v_fma_f32 v26, v26, 2.0, -v14
	v_fma_f32 v27, v27, 2.0, -v15
	ds_store_2addr_b64 v41, v[4:5], v[6:7] offset0:50 offset1:101
	ds_store_2addr_b64 v41, v[8:9], v[10:11] offset0:152 offset1:203
	;; [unrolled: 1-line block ×3, first 2 shown]
	ds_store_2addr_b64 v40, v[16:17], v[18:19] offset1:51
	ds_store_2addr_b64 v40, v[20:21], v[22:23] offset0:102 offset1:153
	ds_store_2addr_b64 v40, v[24:25], v[26:27] offset0:204 offset1:255
	global_wb scope:SCOPE_SE
	s_wait_dscnt 0x0
	s_barrier_signal -1
	s_barrier_wait -1
	global_inv scope:SCOPE_SE
	ds_load_b64 v[6:7], v40
	v_lshlrev_b32_e32 v4, 3, v34
                                        ; implicit-def: $vgpr9
                                        ; implicit-def: $vgpr10
	s_delay_alu instid0(VALU_DEP_1)
	v_sub_nc_u32_e32 v8, 0, v4
                                        ; implicit-def: $vgpr4
	s_and_saveexec_b32 s1, s0
	s_wait_alu 0xfffe
	s_xor_b32 s0, exec_lo, s1
	s_cbranch_execz .LBB0_17
; %bb.16:
	global_load_b64 v[2:3], v[2:3], off offset:4760
	ds_load_b64 v[4:5], v8 offset:4896
	s_wait_dscnt 0x0
	v_dual_sub_f32 v9, v6, v4 :: v_dual_add_f32 v10, v5, v7
	v_dual_sub_f32 v5, v7, v5 :: v_dual_add_f32 v4, v4, v6
	s_delay_alu instid0(VALU_DEP_2) | instskip(SKIP_1) | instid1(VALU_DEP_1)
	v_dual_mul_f32 v7, 0.5, v9 :: v_dual_mul_f32 v6, 0.5, v10
	s_wait_loadcnt 0x0
	v_dual_mul_f32 v5, 0.5, v5 :: v_dual_mul_f32 v10, v3, v7
	s_delay_alu instid0(VALU_DEP_1) | instskip(SKIP_1) | instid1(VALU_DEP_3)
	v_fma_f32 v11, v6, v3, v5
	v_fma_f32 v3, v6, v3, -v5
	v_fma_f32 v9, 0.5, v4, v10
	v_fma_f32 v4, v4, 0.5, -v10
	s_delay_alu instid0(VALU_DEP_4) | instskip(NEXT) | instid1(VALU_DEP_4)
	v_fma_f32 v10, -v2, v7, v11
	v_fma_f32 v5, -v2, v7, v3
	s_delay_alu instid0(VALU_DEP_4) | instskip(NEXT) | instid1(VALU_DEP_4)
	v_fmac_f32_e32 v9, v2, v6
	v_fma_f32 v4, -v2, v6, v4
                                        ; implicit-def: $vgpr6_vgpr7
.LBB0_17:
	s_wait_alu 0xfffe
	s_and_not1_saveexec_b32 s0, s0
	s_cbranch_execz .LBB0_19
; %bb.18:
	s_wait_dscnt 0x0
	v_dual_mov_b32 v10, 0 :: v_dual_add_f32 v9, v6, v7
	v_dual_sub_f32 v4, v6, v7 :: v_dual_mov_b32 v5, 0
	ds_load_b32 v2, v10 offset:2452
	s_wait_dscnt 0x0
	v_xor_b32_e32 v2, 0x80000000, v2
	ds_store_b32 v10, v2 offset:2452
.LBB0_19:
	s_wait_alu 0xfffe
	s_or_b32 exec_lo, exec_lo, s0
	s_add_nc_u64 s[0:1], s[8:9], 0x1298
	s_wait_alu 0xfffe
	v_add_co_u32 v0, s0, s0, v0
	s_wait_alu 0xf1ff
	v_add_co_ci_u32_e64 v1, s0, s1, v1, s0
	global_load_b64 v[2:3], v[0:1], off offset:408
	s_wait_dscnt 0x0
	s_clause 0x3
	global_load_b64 v[6:7], v[0:1], off offset:816
	global_load_b64 v[11:12], v[0:1], off offset:1224
	;; [unrolled: 1-line block ×4, first 2 shown]
	ds_store_2addr_b32 v40, v9, v10 offset1:1
	ds_store_b64 v8, v[4:5] offset:4896
	ds_load_b64 v[4:5], v40 offset:408
	ds_load_b64 v[9:10], v8 offset:4488
	s_wait_dscnt 0x0
	v_dual_sub_f32 v15, v4, v9 :: v_dual_add_f32 v16, v5, v10
	v_dual_sub_f32 v5, v5, v10 :: v_dual_add_f32 v4, v4, v9
	s_delay_alu instid0(VALU_DEP_2) | instskip(NEXT) | instid1(VALU_DEP_2)
	v_dual_mul_f32 v10, 0.5, v15 :: v_dual_mul_f32 v15, 0.5, v16
	v_mul_f32_e32 v5, 0.5, v5
	s_wait_loadcnt 0x4
	s_delay_alu instid0(VALU_DEP_2) | instskip(NEXT) | instid1(VALU_DEP_2)
	v_mul_f32_e32 v9, v3, v10
	v_fma_f32 v16, v15, v3, v5
	v_fma_f32 v3, v15, v3, -v5
	s_delay_alu instid0(VALU_DEP_3) | instskip(SKIP_1) | instid1(VALU_DEP_4)
	v_fma_f32 v5, 0.5, v4, v9
	v_fma_f32 v4, v4, 0.5, -v9
	v_fma_f32 v9, -v2, v10, v16
	s_delay_alu instid0(VALU_DEP_4) | instskip(NEXT) | instid1(VALU_DEP_4)
	v_fma_f32 v3, -v2, v10, v3
	v_fmac_f32_e32 v5, v2, v15
	s_delay_alu instid0(VALU_DEP_4)
	v_fma_f32 v2, -v2, v15, v4
	ds_store_2addr_b32 v40, v5, v9 offset0:102 offset1:103
	ds_store_b64 v8, v[2:3] offset:4488
	ds_load_b64 v[2:3], v40 offset:816
	ds_load_b64 v[4:5], v8 offset:4080
	s_wait_dscnt 0x0
	v_dual_sub_f32 v9, v2, v4 :: v_dual_add_f32 v10, v3, v5
	v_dual_sub_f32 v3, v3, v5 :: v_dual_add_f32 v2, v2, v4
	s_delay_alu instid0(VALU_DEP_2) | instskip(NEXT) | instid1(VALU_DEP_3)
	v_mul_f32_e32 v5, 0.5, v9
	v_mul_f32_e32 v9, 0.5, v10
	s_wait_loadcnt 0x3
	s_delay_alu instid0(VALU_DEP_2) | instskip(NEXT) | instid1(VALU_DEP_1)
	v_dual_mul_f32 v3, 0.5, v3 :: v_dual_mul_f32 v4, v7, v5
	v_fma_f32 v10, v9, v7, v3
	v_fma_f32 v3, v9, v7, -v3
	s_delay_alu instid0(VALU_DEP_3) | instskip(SKIP_1) | instid1(VALU_DEP_4)
	v_fma_f32 v7, 0.5, v2, v4
	v_fma_f32 v2, v2, 0.5, -v4
	v_fma_f32 v4, -v6, v5, v10
	s_delay_alu instid0(VALU_DEP_4) | instskip(NEXT) | instid1(VALU_DEP_4)
	v_fma_f32 v3, -v6, v5, v3
	v_dual_fmac_f32 v7, v6, v9 :: v_dual_add_nc_u32 v10, 0x400, v40
	s_delay_alu instid0(VALU_DEP_4)
	v_fma_f32 v2, -v6, v9, v2
	ds_store_2addr_b32 v40, v7, v4 offset0:204 offset1:205
	ds_store_b64 v8, v[2:3] offset:4080
	ds_load_b64 v[2:3], v40 offset:1224
	ds_load_b64 v[4:5], v8 offset:3672
	s_wait_dscnt 0x0
	v_dual_sub_f32 v6, v2, v4 :: v_dual_add_f32 v7, v3, v5
	v_dual_sub_f32 v3, v3, v5 :: v_dual_add_f32 v2, v2, v4
	s_delay_alu instid0(VALU_DEP_2) | instskip(SKIP_1) | instid1(VALU_DEP_1)
	v_dual_mul_f32 v5, 0.5, v6 :: v_dual_mul_f32 v6, 0.5, v7
	s_wait_loadcnt 0x2
	v_dual_mul_f32 v3, 0.5, v3 :: v_dual_mul_f32 v4, v12, v5
	s_delay_alu instid0(VALU_DEP_1) | instskip(SKIP_1) | instid1(VALU_DEP_3)
	v_fma_f32 v7, v6, v12, v3
	v_fma_f32 v3, v6, v12, -v3
	v_fma_f32 v9, 0.5, v2, v4
	v_fma_f32 v2, v2, 0.5, -v4
	s_delay_alu instid0(VALU_DEP_4) | instskip(NEXT) | instid1(VALU_DEP_4)
	v_fma_f32 v4, -v11, v5, v7
	v_fma_f32 v3, -v11, v5, v3
	s_delay_alu instid0(VALU_DEP_4) | instskip(NEXT) | instid1(VALU_DEP_4)
	v_fmac_f32_e32 v9, v11, v6
	v_fma_f32 v2, -v11, v6, v2
	ds_store_2addr_b32 v10, v9, v4 offset0:50 offset1:51
	ds_store_b64 v8, v[2:3] offset:3672
	ds_load_b64 v[2:3], v40 offset:1632
	ds_load_b64 v[4:5], v8 offset:3264
	s_wait_dscnt 0x0
	v_dual_sub_f32 v6, v2, v4 :: v_dual_add_f32 v7, v3, v5
	v_dual_sub_f32 v3, v3, v5 :: v_dual_add_f32 v2, v2, v4
	s_delay_alu instid0(VALU_DEP_2) | instskip(SKIP_1) | instid1(VALU_DEP_1)
	v_dual_mul_f32 v5, 0.5, v6 :: v_dual_mul_f32 v6, 0.5, v7
	s_wait_loadcnt 0x1
	v_dual_mul_f32 v3, 0.5, v3 :: v_dual_mul_f32 v4, v14, v5
	s_delay_alu instid0(VALU_DEP_1) | instskip(SKIP_1) | instid1(VALU_DEP_3)
	v_fma_f32 v7, v6, v14, v3
	v_fma_f32 v3, v6, v14, -v3
	v_fma_f32 v9, 0.5, v2, v4
	v_fma_f32 v2, v2, 0.5, -v4
	s_delay_alu instid0(VALU_DEP_4) | instskip(NEXT) | instid1(VALU_DEP_4)
	v_fma_f32 v4, -v13, v5, v7
	v_fma_f32 v3, -v13, v5, v3
	s_delay_alu instid0(VALU_DEP_4) | instskip(NEXT) | instid1(VALU_DEP_4)
	v_fmac_f32_e32 v9, v13, v6
	;; [unrolled: 22-line block ×3, first 2 shown]
	v_fma_f32 v0, -v0, v6, v2
	ds_store_2addr_b32 v10, v3, v4 offset0:254 offset1:255
	ds_store_b64 v8, v[0:1] offset:2856
	global_wb scope:SCOPE_SE
	s_wait_dscnt 0x0
	s_barrier_signal -1
	s_barrier_wait -1
	global_inv scope:SCOPE_SE
	s_and_saveexec_b32 s0, vcc_lo
	s_cbranch_execz .LBB0_22
; %bb.20:
	v_mul_lo_u32 v2, s3, v36
	v_mul_lo_u32 v3, s2, v37
	v_mad_co_u64_u32 v[0:1], null, s2, v36, 0
	v_dual_mov_b32 v35, 0 :: v_dual_add_nc_u32 v12, 51, v34
	v_lshlrev_b64_e32 v[10:11], 3, v[32:33]
	v_lshl_add_u32 v20, v34, 3, 0
	s_delay_alu instid0(VALU_DEP_3)
	v_dual_mov_b32 v13, v35 :: v_dual_add_nc_u32 v14, 0x66, v34
	v_add3_u32 v1, v1, v3, v2
	v_lshlrev_b64_e32 v[16:17], 3, v[34:35]
	v_mov_b32_e32 v15, v35
	ds_load_2addr_b64 v[2:5], v20 offset1:51
	ds_load_2addr_b64 v[6:9], v20 offset0:102 offset1:153
	v_lshlrev_b64_e32 v[0:1], 3, v[0:1]
	v_lshlrev_b64_e32 v[12:13], 3, v[12:13]
	v_mov_b32_e32 v19, v35
	v_add_nc_u32_e32 v21, 0x800, v20
	v_add_nc_u32_e32 v18, 0xcc, v34
	v_add_co_u32 v0, vcc_lo, s6, v0
	s_wait_alu 0xfffd
	v_add_co_ci_u32_e32 v1, vcc_lo, s7, v1, vcc_lo
	s_delay_alu instid0(VALU_DEP_2) | instskip(SKIP_1) | instid1(VALU_DEP_2)
	v_add_co_u32 v0, vcc_lo, v0, v10
	s_wait_alu 0xfffd
	v_add_co_ci_u32_e32 v1, vcc_lo, v1, v11, vcc_lo
	v_lshlrev_b64_e32 v[10:11], 3, v[14:15]
	s_delay_alu instid0(VALU_DEP_3) | instskip(SKIP_1) | instid1(VALU_DEP_3)
	v_add_co_u32 v14, vcc_lo, v0, v16
	s_wait_alu 0xfffd
	v_add_co_ci_u32_e32 v15, vcc_lo, v1, v17, vcc_lo
	v_dual_mov_b32 v17, v35 :: v_dual_add_nc_u32 v16, 0x99, v34
	v_add_co_u32 v12, vcc_lo, v0, v12
	s_wait_alu 0xfffd
	v_add_co_ci_u32_e32 v13, vcc_lo, v1, v13, vcc_lo
	s_delay_alu instid0(VALU_DEP_3) | instskip(SKIP_3) | instid1(VALU_DEP_3)
	v_lshlrev_b64_e32 v[16:17], 3, v[16:17]
	v_add_co_u32 v10, vcc_lo, v0, v10
	s_wait_alu 0xfffd
	v_add_co_ci_u32_e32 v11, vcc_lo, v1, v11, vcc_lo
	v_add_co_u32 v16, vcc_lo, v0, v16
	s_wait_alu 0xfffd
	v_add_co_ci_u32_e32 v17, vcc_lo, v1, v17, vcc_lo
	s_wait_dscnt 0x1
	s_clause 0x1
	global_store_b64 v[14:15], v[2:3], off
	global_store_b64 v[12:13], v[4:5], off
	s_wait_dscnt 0x0
	s_clause 0x1
	global_store_b64 v[10:11], v[6:7], off
	global_store_b64 v[16:17], v[8:9], off
	v_add_nc_u32_e32 v8, 0xff, v34
	v_lshlrev_b64_e32 v[6:7], 3, v[18:19]
	v_dual_mov_b32 v9, v35 :: v_dual_add_nc_u32 v10, 0x132, v34
	ds_load_2addr_b64 v[2:5], v20 offset0:204 offset1:255
	v_dual_mov_b32 v11, v35 :: v_dual_add_nc_u32 v16, 0x165, v34
	v_add_co_u32 v12, vcc_lo, v0, v6
	s_wait_alu 0xfffd
	v_add_co_ci_u32_e32 v13, vcc_lo, v1, v7, vcc_lo
	v_lshlrev_b64_e32 v[14:15], 3, v[8:9]
	ds_load_2addr_b64 v[6:9], v21 offset0:50 offset1:101
	v_dual_mov_b32 v17, v35 :: v_dual_add_nc_u32 v18, 0x198, v34
	v_lshlrev_b64_e32 v[10:11], 3, v[10:11]
	v_add_co_u32 v14, vcc_lo, v0, v14
	s_delay_alu instid0(VALU_DEP_3) | instskip(SKIP_2) | instid1(VALU_DEP_4)
	v_lshlrev_b64_e32 v[16:17], 3, v[16:17]
	s_wait_alu 0xfffd
	v_add_co_ci_u32_e32 v15, vcc_lo, v1, v15, vcc_lo
	v_add_co_u32 v10, vcc_lo, v0, v10
	s_wait_alu 0xfffd
	v_add_co_ci_u32_e32 v11, vcc_lo, v1, v11, vcc_lo
	v_add_co_u32 v16, vcc_lo, v0, v16
	s_wait_alu 0xfffd
	v_add_co_ci_u32_e32 v17, vcc_lo, v1, v17, vcc_lo
	s_wait_dscnt 0x1
	s_clause 0x1
	global_store_b64 v[12:13], v[2:3], off
	global_store_b64 v[14:15], v[4:5], off
	s_wait_dscnt 0x0
	s_clause 0x1
	global_store_b64 v[10:11], v[6:7], off
	global_store_b64 v[16:17], v[8:9], off
	v_lshlrev_b64_e32 v[6:7], 3, v[18:19]
	v_dual_mov_b32 v9, v35 :: v_dual_add_nc_u32 v8, 0x1cb, v34
	v_dual_mov_b32 v17, v35 :: v_dual_add_nc_u32 v16, 0xc00, v20
	;; [unrolled: 1-line block ×3, first 2 shown]
	s_delay_alu instid0(VALU_DEP_4)
	v_add_co_u32 v12, vcc_lo, v0, v6
	ds_load_2addr_b64 v[2:5], v21 offset0:152 offset1:203
	v_lshlrev_b64_e32 v[14:15], 3, v[8:9]
	s_wait_alu 0xfffd
	v_add_co_ci_u32_e32 v13, vcc_lo, v1, v7, vcc_lo
	ds_load_2addr_b64 v[6:9], v16 offset0:126 offset1:177
	v_add_nc_u32_e32 v16, 0x231, v34
	v_lshlrev_b64_e32 v[10:11], 3, v[10:11]
	v_add_co_u32 v14, vcc_lo, v0, v14
	s_wait_alu 0xfffd
	v_add_co_ci_u32_e32 v15, vcc_lo, v1, v15, vcc_lo
	v_lshlrev_b64_e32 v[16:17], 3, v[16:17]
	s_delay_alu instid0(VALU_DEP_4) | instskip(SKIP_2) | instid1(VALU_DEP_3)
	v_add_co_u32 v10, vcc_lo, v0, v10
	s_wait_alu 0xfffd
	v_add_co_ci_u32_e32 v11, vcc_lo, v1, v11, vcc_lo
	v_add_co_u32 v16, vcc_lo, v0, v16
	s_wait_alu 0xfffd
	v_add_co_ci_u32_e32 v17, vcc_lo, v1, v17, vcc_lo
	v_cmp_eq_u32_e32 vcc_lo, 50, v34
	s_wait_dscnt 0x1
	s_clause 0x1
	global_store_b64 v[12:13], v[2:3], off
	global_store_b64 v[14:15], v[4:5], off
	s_wait_dscnt 0x0
	s_clause 0x1
	global_store_b64 v[10:11], v[6:7], off
	global_store_b64 v[16:17], v[8:9], off
	s_and_b32 exec_lo, exec_lo, vcc_lo
	s_cbranch_execz .LBB0_22
; %bb.21:
	ds_load_b64 v[2:3], v35 offset:4896
	s_wait_dscnt 0x0
	global_store_b64 v[0:1], v[2:3], off offset:4896
.LBB0_22:
	s_nop 0
	s_sendmsg sendmsg(MSG_DEALLOC_VGPRS)
	s_endpgm
	.section	.rodata,"a",@progbits
	.p2align	6, 0x0
	.amdhsa_kernel fft_rtc_fwd_len612_factors_17_3_6_2_wgs_51_tpt_51_halfLds_sp_op_CI_CI_unitstride_sbrr_R2C_dirReg
		.amdhsa_group_segment_fixed_size 0
		.amdhsa_private_segment_fixed_size 0
		.amdhsa_kernarg_size 104
		.amdhsa_user_sgpr_count 2
		.amdhsa_user_sgpr_dispatch_ptr 0
		.amdhsa_user_sgpr_queue_ptr 0
		.amdhsa_user_sgpr_kernarg_segment_ptr 1
		.amdhsa_user_sgpr_dispatch_id 0
		.amdhsa_user_sgpr_private_segment_size 0
		.amdhsa_wavefront_size32 1
		.amdhsa_uses_dynamic_stack 0
		.amdhsa_enable_private_segment 0
		.amdhsa_system_sgpr_workgroup_id_x 1
		.amdhsa_system_sgpr_workgroup_id_y 0
		.amdhsa_system_sgpr_workgroup_id_z 0
		.amdhsa_system_sgpr_workgroup_info 0
		.amdhsa_system_vgpr_workitem_id 0
		.amdhsa_next_free_vgpr 176
		.amdhsa_next_free_sgpr 39
		.amdhsa_reserve_vcc 1
		.amdhsa_float_round_mode_32 0
		.amdhsa_float_round_mode_16_64 0
		.amdhsa_float_denorm_mode_32 3
		.amdhsa_float_denorm_mode_16_64 3
		.amdhsa_fp16_overflow 0
		.amdhsa_workgroup_processor_mode 1
		.amdhsa_memory_ordered 1
		.amdhsa_forward_progress 0
		.amdhsa_round_robin_scheduling 0
		.amdhsa_exception_fp_ieee_invalid_op 0
		.amdhsa_exception_fp_denorm_src 0
		.amdhsa_exception_fp_ieee_div_zero 0
		.amdhsa_exception_fp_ieee_overflow 0
		.amdhsa_exception_fp_ieee_underflow 0
		.amdhsa_exception_fp_ieee_inexact 0
		.amdhsa_exception_int_div_zero 0
	.end_amdhsa_kernel
	.text
.Lfunc_end0:
	.size	fft_rtc_fwd_len612_factors_17_3_6_2_wgs_51_tpt_51_halfLds_sp_op_CI_CI_unitstride_sbrr_R2C_dirReg, .Lfunc_end0-fft_rtc_fwd_len612_factors_17_3_6_2_wgs_51_tpt_51_halfLds_sp_op_CI_CI_unitstride_sbrr_R2C_dirReg
                                        ; -- End function
	.section	.AMDGPU.csdata,"",@progbits
; Kernel info:
; codeLenInByte = 11780
; NumSgprs: 41
; NumVgprs: 176
; ScratchSize: 0
; MemoryBound: 0
; FloatMode: 240
; IeeeMode: 1
; LDSByteSize: 0 bytes/workgroup (compile time only)
; SGPRBlocks: 5
; VGPRBlocks: 21
; NumSGPRsForWavesPerEU: 41
; NumVGPRsForWavesPerEU: 176
; Occupancy: 8
; WaveLimiterHint : 1
; COMPUTE_PGM_RSRC2:SCRATCH_EN: 0
; COMPUTE_PGM_RSRC2:USER_SGPR: 2
; COMPUTE_PGM_RSRC2:TRAP_HANDLER: 0
; COMPUTE_PGM_RSRC2:TGID_X_EN: 1
; COMPUTE_PGM_RSRC2:TGID_Y_EN: 0
; COMPUTE_PGM_RSRC2:TGID_Z_EN: 0
; COMPUTE_PGM_RSRC2:TIDIG_COMP_CNT: 0
	.text
	.p2alignl 7, 3214868480
	.fill 96, 4, 3214868480
	.type	__hip_cuid_47587714b60b5784,@object ; @__hip_cuid_47587714b60b5784
	.section	.bss,"aw",@nobits
	.globl	__hip_cuid_47587714b60b5784
__hip_cuid_47587714b60b5784:
	.byte	0                               ; 0x0
	.size	__hip_cuid_47587714b60b5784, 1

	.ident	"AMD clang version 19.0.0git (https://github.com/RadeonOpenCompute/llvm-project roc-6.4.0 25133 c7fe45cf4b819c5991fe208aaa96edf142730f1d)"
	.section	".note.GNU-stack","",@progbits
	.addrsig
	.addrsig_sym __hip_cuid_47587714b60b5784
	.amdgpu_metadata
---
amdhsa.kernels:
  - .args:
      - .actual_access:  read_only
        .address_space:  global
        .offset:         0
        .size:           8
        .value_kind:     global_buffer
      - .offset:         8
        .size:           8
        .value_kind:     by_value
      - .actual_access:  read_only
        .address_space:  global
        .offset:         16
        .size:           8
        .value_kind:     global_buffer
      - .actual_access:  read_only
        .address_space:  global
        .offset:         24
        .size:           8
        .value_kind:     global_buffer
      - .actual_access:  read_only
        .address_space:  global
        .offset:         32
        .size:           8
        .value_kind:     global_buffer
      - .offset:         40
        .size:           8
        .value_kind:     by_value
      - .actual_access:  read_only
        .address_space:  global
        .offset:         48
        .size:           8
        .value_kind:     global_buffer
      - .actual_access:  read_only
        .address_space:  global
        .offset:         56
        .size:           8
        .value_kind:     global_buffer
      - .offset:         64
        .size:           4
        .value_kind:     by_value
      - .actual_access:  read_only
        .address_space:  global
        .offset:         72
        .size:           8
        .value_kind:     global_buffer
      - .actual_access:  read_only
        .address_space:  global
        .offset:         80
        .size:           8
        .value_kind:     global_buffer
      - .actual_access:  read_only
        .address_space:  global
        .offset:         88
        .size:           8
        .value_kind:     global_buffer
      - .actual_access:  write_only
        .address_space:  global
        .offset:         96
        .size:           8
        .value_kind:     global_buffer
    .group_segment_fixed_size: 0
    .kernarg_segment_align: 8
    .kernarg_segment_size: 104
    .language:       OpenCL C
    .language_version:
      - 2
      - 0
    .max_flat_workgroup_size: 51
    .name:           fft_rtc_fwd_len612_factors_17_3_6_2_wgs_51_tpt_51_halfLds_sp_op_CI_CI_unitstride_sbrr_R2C_dirReg
    .private_segment_fixed_size: 0
    .sgpr_count:     41
    .sgpr_spill_count: 0
    .symbol:         fft_rtc_fwd_len612_factors_17_3_6_2_wgs_51_tpt_51_halfLds_sp_op_CI_CI_unitstride_sbrr_R2C_dirReg.kd
    .uniform_work_group_size: 1
    .uses_dynamic_stack: false
    .vgpr_count:     176
    .vgpr_spill_count: 0
    .wavefront_size: 32
    .workgroup_processor_mode: 1
amdhsa.target:   amdgcn-amd-amdhsa--gfx1201
amdhsa.version:
  - 1
  - 2
...

	.end_amdgpu_metadata
